;; amdgpu-corpus repo=ROCm/rocFFT kind=compiled arch=gfx1100 opt=O3
	.text
	.amdgcn_target "amdgcn-amd-amdhsa--gfx1100"
	.amdhsa_code_object_version 6
	.protected	bluestein_single_back_len1625_dim1_sp_op_CI_CI ; -- Begin function bluestein_single_back_len1625_dim1_sp_op_CI_CI
	.globl	bluestein_single_back_len1625_dim1_sp_op_CI_CI
	.p2align	8
	.type	bluestein_single_back_len1625_dim1_sp_op_CI_CI,@function
bluestein_single_back_len1625_dim1_sp_op_CI_CI: ; @bluestein_single_back_len1625_dim1_sp_op_CI_CI
; %bb.0:
	s_load_b128 s[16:19], s[0:1], 0x28
	v_mul_u32_u24_e32 v1, 0x3f1, v0
	v_mov_b32_e32 v8, 0
	s_mov_b32 s2, exec_lo
	s_delay_alu instid0(VALU_DEP_2) | instskip(NEXT) | instid1(VALU_DEP_1)
	v_lshrrev_b32_e32 v2, 16, v1
	v_lshl_add_u32 v7, s15, 1, v2
	s_waitcnt lgkmcnt(0)
	s_delay_alu instid0(VALU_DEP_1)
	v_cmpx_gt_u64_e64 s[16:17], v[7:8]
	s_cbranch_execz .LBB0_15
; %bb.1:
	s_clause 0x1
	s_load_b128 s[4:7], s[0:1], 0x18
	s_load_b64 s[2:3], s[0:1], 0x0
	v_mul_lo_u16 v1, 0x41, v2
	v_mov_b32_e32 v5, v7
	s_delay_alu instid0(VALU_DEP_2) | instskip(NEXT) | instid1(VALU_DEP_1)
	v_sub_nc_u16 v37, v0, v1
	v_and_b32_e32 v200, 0xffff, v37
	s_delay_alu instid0(VALU_DEP_1)
	v_lshlrev_b32_e32 v33, 3, v200
	s_waitcnt lgkmcnt(0)
	s_load_b128 s[8:11], s[4:5], 0x0
	s_clause 0x3
	global_load_b64 v[191:192], v33, s[2:3]
	global_load_b64 v[189:190], v33, s[2:3] offset:1000
	global_load_b64 v[174:175], v33, s[2:3] offset:2000
	;; [unrolled: 1-line block ×3, first 2 shown]
	scratch_store_b64 off, v[5:6], off      ; 8-byte Folded Spill
	s_waitcnt lgkmcnt(0)
	v_mad_u64_u32 v[0:1], null, s10, v7, 0
	v_mad_u64_u32 v[3:4], null, s8, v200, 0
	s_delay_alu instid0(VALU_DEP_2) | instskip(SKIP_1) | instid1(VALU_DEP_2)
	v_mad_u64_u32 v[5:6], null, s11, v7, v[1:2]
	v_and_b32_e32 v2, 1, v2
	v_mad_u64_u32 v[6:7], null, s9, v200, v[4:5]
	v_mov_b32_e32 v1, v5
	s_delay_alu instid0(VALU_DEP_1) | instskip(NEXT) | instid1(VALU_DEP_3)
	v_lshlrev_b64 v[0:1], 3, v[0:1]
	v_mov_b32_e32 v4, v6
	v_add_co_u32 v164, s4, s2, v33
	s_delay_alu instid0(VALU_DEP_1) | instskip(NEXT) | instid1(VALU_DEP_3)
	v_add_co_ci_u32_e64 v165, null, s3, 0, s4
	v_lshlrev_b64 v[3:4], 3, v[3:4]
	s_delay_alu instid0(VALU_DEP_3) | instskip(NEXT) | instid1(VALU_DEP_3)
	v_add_co_u32 v162, vcc_lo, 0x1000, v164
	v_add_co_ci_u32_e32 v163, vcc_lo, 0, v165, vcc_lo
	v_add_co_u32 v160, vcc_lo, 0x2000, v164
	v_add_co_ci_u32_e32 v161, vcc_lo, 0, v165, vcc_lo
	;; [unrolled: 2-line block ×3, first 2 shown]
	global_load_b64 v[172:173], v33, s[2:3] offset:4000
	s_mul_i32 s3, s9, 0x7d
	s_mul_hi_u32 s4, s8, 0x7d
	v_add_co_u32 v0, vcc_lo, v0, v3
	s_mul_i32 s2, s8, 0x7d
	s_add_i32 s3, s4, s3
	v_add_co_ci_u32_e32 v1, vcc_lo, v1, v4, vcc_lo
	s_lshl_b64 s[12:13], s[2:3], 3
	s_clause 0x3
	global_load_b64 v[184:185], v[162:163], off offset:904
	global_load_b64 v[180:181], v[162:163], off offset:1904
	;; [unrolled: 1-line block ×4, first 2 shown]
	v_add_co_u32 v3, vcc_lo, v0, s12
	v_add_co_ci_u32_e32 v4, vcc_lo, s13, v1, vcc_lo
	s_clause 0x1
	global_load_b64 v[170:171], v[160:161], off offset:808
	global_load_b64 v[168:169], v[160:161], off offset:1808
	v_add_co_u32 v5, vcc_lo, v3, s12
	v_add_co_ci_u32_e32 v6, vcc_lo, s13, v4, vcc_lo
	s_clause 0x1
	global_load_b64 v[9:10], v[0:1], off
	global_load_b64 v[11:12], v[3:4], off
	v_add_co_u32 v7, vcc_lo, v5, s12
	v_add_co_ci_u32_e32 v8, vcc_lo, s13, v6, vcc_lo
	s_delay_alu instid0(VALU_DEP_2) | instskip(NEXT) | instid1(VALU_DEP_2)
	v_add_co_u32 v0, vcc_lo, v7, s12
	v_add_co_ci_u32_e32 v1, vcc_lo, s13, v8, vcc_lo
	s_clause 0x1
	global_load_b64 v[13:14], v[5:6], off
	global_load_b64 v[7:8], v[7:8], off
	v_add_co_u32 v3, vcc_lo, v0, s12
	v_add_co_ci_u32_e32 v4, vcc_lo, s13, v1, vcc_lo
	global_load_b64 v[15:16], v[0:1], off
	v_add_co_u32 v0, vcc_lo, v3, s12
	v_add_co_ci_u32_e32 v1, vcc_lo, s13, v4, vcc_lo
	;; [unrolled: 3-line block ×8, first 2 shown]
	global_load_b64 v[29:30], v[3:4], off
	s_clause 0x1
	global_load_b64 v[182:183], v[160:161], off offset:2808
	global_load_b64 v[186:187], v[160:161], off offset:3808
	global_load_b64 v[31:32], v[0:1], off
	v_cmp_eq_u32_e32 vcc_lo, 1, v2
	s_load_b64 s[10:11], s[0:1], 0x38
	s_load_b128 s[4:7], s[6:7], 0x0
	v_cndmask_b32_e64 v2, 0, 0x659, vcc_lo
	v_cmp_gt_u16_e32 vcc_lo, 60, v37
	s_waitcnt vmcnt(14)
	s_delay_alu instid0(VALU_DEP_2) | instskip(SKIP_1) | instid1(VALU_DEP_1)
	v_dual_mul_f32 v6, v9, v192 :: v_dual_lshlrev_b32 v201, 3, v2
	s_waitcnt vmcnt(13)
	v_dual_mul_f32 v36, v11, v190 :: v_dual_add_nc_u32 v199, v201, v33
	v_mul_f32_e32 v35, v12, v190
	v_mul_f32_e32 v33, v10, v192
	v_fma_f32 v34, v10, v191, -v6
	s_delay_alu instid0(VALU_DEP_4) | instskip(NEXT) | instid1(VALU_DEP_4)
	v_add_nc_u32_e32 v4, 0x1c00, v199
	v_dual_fmac_f32 v35, v11, v189 :: v_dual_add_nc_u32 v2, 0x1400, v199
	v_add_nc_u32_e32 v5, 0x400, v199
	s_waitcnt vmcnt(12)
	v_mul_f32_e32 v10, v13, v175
	v_add_nc_u32_e32 v3, 0xc00, v199
	v_fmac_f32_e32 v33, v9, v191
	v_fma_f32 v36, v12, v189, -v36
	v_mul_f32_e32 v9, v14, v175
	s_waitcnt vmcnt(11)
	v_dual_mul_f32 v11, v8, v177 :: v_dual_add_nc_u32 v6, 0x2400, v199
	v_fma_f32 v10, v14, v174, -v10
	v_mul_f32_e32 v12, v7, v177
	s_waitcnt vmcnt(10)
	v_mul_f32_e32 v14, v15, v173
	ds_store_2addr_b64 v199, v[33:34], v[35:36] offset1:125
	v_fmac_f32_e32 v11, v7, v176
	v_mul_f32_e32 v7, v16, v173
	s_waitcnt vmcnt(9)
	v_mul_f32_e32 v33, v17, v185
	v_fma_f32 v12, v8, v176, -v12
	v_fma_f32 v8, v16, v172, -v14
	v_fmac_f32_e32 v7, v15, v172
	s_delay_alu instid0(VALU_DEP_4)
	v_fma_f32 v14, v18, v184, -v33
	s_waitcnt vmcnt(4)
	v_dual_mul_f32 v16, v27, v169 :: v_dual_fmac_f32 v9, v13, v174
	s_waitcnt vmcnt(2)
	v_dual_mul_f32 v13, v18, v185 :: v_dual_mul_f32 v18, v29, v183
	v_mul_f32_e32 v15, v28, v169
	s_delay_alu instid0(VALU_DEP_3) | instskip(NEXT) | instid1(VALU_DEP_3)
	v_fma_f32 v16, v28, v168, -v16
	v_fmac_f32_e32 v13, v17, v184
	v_mul_f32_e32 v17, v30, v183
	s_delay_alu instid0(VALU_DEP_4)
	v_fmac_f32_e32 v15, v27, v168
	v_fma_f32 v18, v30, v182, -v18
	ds_store_2addr_b64 v3, v[7:8], v[13:14] offset0:116 offset1:241
	v_mul_f32_e32 v8, v21, v179
	ds_store_2addr_b64 v5, v[9:10], v[11:12] offset0:122 offset1:247
	v_mul_f32_e32 v9, v20, v181
	v_dual_mul_f32 v10, v19, v181 :: v_dual_mul_f32 v11, v22, v179
	v_mul_f32_e32 v7, v24, v167
	v_fma_f32 v12, v22, v178, -v8
	v_mul_f32_e32 v8, v23, v167
	v_mul_f32_e32 v13, v26, v171
	v_dual_mul_f32 v14, v25, v171 :: v_dual_fmac_f32 v9, v19, v180
	v_fma_f32 v10, v20, v180, -v10
	s_waitcnt vmcnt(0)
	v_mul_f32_e32 v19, v32, v187
	v_dual_mul_f32 v20, v31, v187 :: v_dual_fmac_f32 v11, v21, v178
	v_fmac_f32_e32 v7, v23, v166
	v_fma_f32 v8, v24, v166, -v8
	v_fmac_f32_e32 v13, v25, v170
	v_fma_f32 v14, v26, v170, -v14
	v_fmac_f32_e32 v17, v29, v182
	v_fmac_f32_e32 v19, v31, v186
	v_fma_f32 v20, v32, v186, -v20
	ds_store_2addr_b64 v2, v[9:10], v[11:12] offset0:110 offset1:235
	ds_store_2addr_b64 v4, v[7:8], v[13:14] offset0:104 offset1:229
	;; [unrolled: 1-line block ×3, first 2 shown]
	ds_store_b64 v199, v[19:20] offset:12000
	s_and_saveexec_b32 s3, vcc_lo
	s_cbranch_execz .LBB0_3
; %bb.2:
	v_mad_u64_u32 v[7:8], null, 0xffffd328, s8, v[0:1]
	s_mul_i32 s2, s9, 0xffffd328
	s_clause 0x3
	global_load_b64 v[11:12], v[164:165], off offset:520
	global_load_b64 v[13:14], v[164:165], off offset:1520
	;; [unrolled: 1-line block ×4, first 2 shown]
	s_sub_i32 s2, s2, s8
	s_clause 0x2
	global_load_b64 v[21:22], v[162:163], off offset:424
	global_load_b64 v[23:24], v[162:163], off offset:1424
	;; [unrolled: 1-line block ×3, first 2 shown]
	v_add_nc_u32_e32 v8, s2, v8
	v_add_co_u32 v0, s2, v7, s12
	s_delay_alu instid0(VALU_DEP_1) | instskip(NEXT) | instid1(VALU_DEP_2)
	v_add_co_ci_u32_e64 v1, s2, s13, v8, s2
	v_add_co_u32 v9, s2, v0, s12
	global_load_b64 v[7:8], v[7:8], off
	v_add_co_ci_u32_e64 v10, s2, s13, v1, s2
	v_add_co_u32 v19, s2, v9, s12
	global_load_b64 v[0:1], v[0:1], off
	;; [unrolled: 3-line block ×6, first 2 shown]
	v_add_co_ci_u32_e64 v34, s2, s13, v32, s2
	v_add_co_u32 v35, s2, v33, s12
	v_add_nc_u32_e32 v59, 0x800, v199
	s_delay_alu instid0(VALU_DEP_3) | instskip(NEXT) | instid1(VALU_DEP_3)
	v_add_co_ci_u32_e64 v36, s2, s13, v34, s2
	v_add_co_u32 v37, s2, v35, s12
	v_add_nc_u32_e32 v60, 0x1000, v199
	s_delay_alu instid0(VALU_DEP_3) | instskip(NEXT) | instid1(VALU_DEP_3)
	v_add_co_ci_u32_e64 v38, s2, s13, v36, s2
	v_add_co_u32 v39, s2, v37, s12
	v_add_nc_u32_e32 v61, 0x1800, v199
	s_delay_alu instid0(VALU_DEP_3)
	v_add_co_ci_u32_e64 v40, s2, s13, v38, s2
	global_load_b64 v[31:32], v[31:32], off
	global_load_b64 v[33:34], v[33:34], off
	;; [unrolled: 1-line block ×5, first 2 shown]
	s_clause 0x3
	global_load_b64 v[43:44], v[162:163], off offset:3424
	global_load_b64 v[45:46], v[160:161], off offset:328
	global_load_b64 v[47:48], v[160:161], off offset:1328
	global_load_b64 v[49:50], v[160:161], off offset:2328
	v_add_co_u32 v39, s2, v39, s12
	s_delay_alu instid0(VALU_DEP_1) | instskip(SKIP_1) | instid1(VALU_DEP_1)
	v_add_co_ci_u32_e64 v40, s2, s13, v40, s2
	v_add_co_u32 v51, s2, 0x3000, v164
	v_add_co_ci_u32_e64 v52, s2, 0, v165, s2
	s_delay_alu instid0(VALU_DEP_4) | instskip(NEXT) | instid1(VALU_DEP_1)
	v_add_co_u32 v53, s2, v39, s12
	v_add_co_ci_u32_e64 v54, s2, s13, v40, s2
	global_load_b64 v[39:40], v[39:40], off
	s_clause 0x1
	global_load_b64 v[55:56], v[160:161], off offset:3328
	global_load_b64 v[51:52], v[51:52], off offset:232
	global_load_b64 v[53:54], v[53:54], off
	v_add_nc_u32_e32 v62, 0x2000, v199
	v_add_nc_u32_e32 v63, 0x2800, v199
	s_waitcnt vmcnt(18)
	v_mul_f32_e32 v57, v8, v12
	v_mul_f32_e32 v58, v7, v12
	s_waitcnt vmcnt(17)
	s_delay_alu instid0(VALU_DEP_2) | instskip(NEXT) | instid1(VALU_DEP_2)
	v_dual_mul_f32 v12, v1, v14 :: v_dual_fmac_f32 v57, v7, v11
	v_fma_f32 v58, v8, v11, -v58
	v_mul_f32_e32 v8, v0, v14
	s_delay_alu instid0(VALU_DEP_3)
	v_fmac_f32_e32 v12, v0, v13
	s_waitcnt vmcnt(16)
	v_mul_f32_e32 v0, v10, v16
	v_mul_f32_e32 v11, v9, v16
	v_fma_f32 v13, v1, v13, -v8
	s_waitcnt vmcnt(15)
	v_mul_f32_e32 v7, v20, v18
	v_mul_f32_e32 v14, v19, v18
	v_fmac_f32_e32 v0, v9, v15
	v_fma_f32 v1, v10, v15, -v11
	s_delay_alu instid0(VALU_DEP_4) | instskip(NEXT) | instid1(VALU_DEP_4)
	v_fmac_f32_e32 v7, v19, v17
	v_fma_f32 v8, v20, v17, -v14
	s_waitcnt vmcnt(14)
	v_mul_f32_e32 v9, v28, v22
	s_waitcnt vmcnt(13)
	v_mul_f32_e32 v11, v30, v24
	ds_store_2addr_b64 v59, v[0:1], v[7:8] offset0:59 offset1:184
	v_mul_f32_e32 v1, v29, v24
	ds_store_2addr_b64 v199, v[57:58], v[12:13] offset0:65 offset1:190
	v_dual_mul_f32 v10, v27, v22 :: v_dual_fmac_f32 v11, v29, v23
	v_fma_f32 v12, v30, v23, -v1
	s_delay_alu instid0(VALU_DEP_2)
	v_fma_f32 v10, v28, v21, -v10
	s_waitcnt vmcnt(12)
	v_mul_f32_e32 v8, v31, v26
	s_waitcnt vmcnt(7)
	v_dual_mul_f32 v0, v32, v26 :: v_dual_mul_f32 v7, v34, v44
	s_waitcnt vmcnt(6)
	v_dual_mul_f32 v14, v33, v44 :: v_dual_mul_f32 v13, v36, v46
	s_waitcnt vmcnt(5)
	v_dual_mul_f32 v16, v37, v48 :: v_dual_fmac_f32 v9, v27, v21
	v_fma_f32 v1, v32, v25, -v8
	s_delay_alu instid0(VALU_DEP_3)
	v_fma_f32 v8, v34, v43, -v14
	v_dual_mul_f32 v14, v35, v46 :: v_dual_mul_f32 v15, v38, v48
	s_waitcnt vmcnt(4)
	v_dual_fmac_f32 v13, v35, v45 :: v_dual_mul_f32 v18, v41, v50
	v_dual_mul_f32 v17, v42, v50 :: v_dual_fmac_f32 v0, v31, v25
	v_fmac_f32_e32 v7, v33, v43
	s_waitcnt vmcnt(2)
	v_mul_f32_e32 v19, v40, v56
	v_mul_f32_e32 v20, v39, v56
	s_waitcnt vmcnt(0)
	v_mul_f32_e32 v21, v54, v52
	v_mul_f32_e32 v22, v53, v52
	v_fma_f32 v14, v36, v45, -v14
	v_fmac_f32_e32 v19, v39, v55
	v_fmac_f32_e32 v15, v37, v47
	v_fma_f32 v16, v38, v47, -v16
	v_fmac_f32_e32 v17, v41, v49
	v_fma_f32 v18, v42, v49, -v18
	v_fma_f32 v20, v40, v55, -v20
	v_fmac_f32_e32 v21, v53, v51
	v_fma_f32 v22, v54, v51, -v22
	ds_store_2addr_b64 v60, v[9:10], v[11:12] offset0:53 offset1:178
	ds_store_2addr_b64 v61, v[0:1], v[7:8] offset0:47 offset1:172
	;; [unrolled: 1-line block ×4, first 2 shown]
	ds_store_b64 v199, v[21:22] offset:12520
.LBB0_3:
	s_or_b32 exec_lo, exec_lo, s3
	s_waitcnt lgkmcnt(0)
	s_waitcnt_vscnt null, 0x0
	s_barrier
	buffer_gl0_inv
	ds_load_2addr_b64 v[44:47], v199 offset1:125
	ds_load_2addr_b64 v[36:39], v5 offset0:122 offset1:247
	ds_load_2addr_b64 v[28:31], v3 offset0:116 offset1:241
	;; [unrolled: 1-line block ×5, first 2 shown]
	ds_load_b64 v[50:51], v199 offset:12000
	s_load_b64 s[0:1], s[0:1], 0x8
	v_mov_b32_e32 v0, 0
	v_mov_b32_e32 v1, 0
                                        ; implicit-def: $vgpr14
                                        ; implicit-def: $vgpr8
                                        ; implicit-def: $vgpr4
                                        ; implicit-def: $vgpr48
                                        ; implicit-def: $vgpr18
                                        ; implicit-def: $vgpr22
	s_and_saveexec_b32 s2, vcc_lo
	s_cbranch_execz .LBB0_5
; %bb.4:
	v_add_nc_u32_e32 v4, 0x800, v199
	v_add_nc_u32_e32 v5, 0x1000, v199
	;; [unrolled: 1-line block ×5, first 2 shown]
	ds_load_2addr_b64 v[0:3], v199 offset0:65 offset1:190
	ds_load_2addr_b64 v[20:23], v4 offset0:59 offset1:184
	;; [unrolled: 1-line block ×6, first 2 shown]
	ds_load_b64 v[48:49], v199 offset:12520
.LBB0_5:
	s_or_b32 exec_lo, exec_lo, s2
	s_waitcnt lgkmcnt(0)
	v_dual_add_f32 v52, v44, v46 :: v_dual_add_f32 v53, v45, v47
	v_add_co_u32 v84, s2, 0x41, v200
	s_delay_alu instid0(VALU_DEP_1) | instskip(NEXT) | instid1(VALU_DEP_3)
	v_add_co_ci_u32_e64 v54, null, 0, 0, s2
	v_dual_add_f32 v52, v52, v36 :: v_dual_add_f32 v53, v53, v37
	v_add_f32_e32 v54, v50, v46
	v_dual_sub_f32 v56, v46, v50 :: v_dual_add_f32 v57, v51, v47
	s_delay_alu instid0(VALU_DEP_3) | instskip(NEXT) | instid1(VALU_DEP_2)
	v_dual_add_f32 v52, v52, v38 :: v_dual_sub_f32 v55, v47, v51
	v_dual_add_f32 v53, v53, v39 :: v_dual_mul_f32 v68, 0xbf6f5d39, v56
	s_delay_alu instid0(VALU_DEP_2) | instskip(NEXT) | instid1(VALU_DEP_2)
	v_dual_sub_f32 v75, v37, v43 :: v_dual_add_f32 v46, v52, v28
	v_dual_mul_f32 v52, 0xbeedf032, v55 :: v_dual_add_f32 v47, v53, v29
	v_mul_f32_e32 v53, 0xbeedf032, v56
	v_dual_mul_f32 v58, 0xbf52af12, v55 :: v_dual_mul_f32 v59, 0xbf52af12, v56
	s_delay_alu instid0(VALU_DEP_3) | instskip(SKIP_1) | instid1(VALU_DEP_3)
	v_dual_add_f32 v46, v46, v30 :: v_dual_add_f32 v47, v47, v31
	v_dual_mul_f32 v60, 0xbf7e222b, v55 :: v_dual_mul_f32 v61, 0xbf7e222b, v56
	v_fma_f32 v65, 0x3f116cb1, v54, -v58
	s_delay_alu instid0(VALU_DEP_3) | instskip(SKIP_2) | instid1(VALU_DEP_4)
	v_dual_add_f32 v46, v46, v24 :: v_dual_add_f32 v47, v47, v25
	v_fmamk_f32 v64, v57, 0x3f62ad3f, v53
	v_fma_f32 v53, 0x3f62ad3f, v57, -v53
	v_dual_fmamk_f32 v66, v57, 0x3f116cb1, v59 :: v_dual_add_f32 v65, v44, v65
	s_delay_alu instid0(VALU_DEP_4) | instskip(SKIP_1) | instid1(VALU_DEP_4)
	v_add_f32_e32 v47, v47, v27
	v_mul_f32_e32 v62, 0xbf6f5d39, v55
	v_dual_fmac_f32 v58, 0x3f116cb1, v54 :: v_dual_add_f32 v53, v45, v53
	v_fma_f32 v59, 0x3f116cb1, v57, -v59
	s_delay_alu instid0(VALU_DEP_4) | instskip(SKIP_1) | instid1(VALU_DEP_4)
	v_dual_add_f32 v47, v47, v33 :: v_dual_add_f32 v46, v46, v26
	v_fma_f32 v67, 0x3df6dbef, v54, -v60
	v_dual_add_f32 v58, v44, v58 :: v_dual_mul_f32 v69, 0xbf29c268, v55
	s_delay_alu instid0(VALU_DEP_3) | instskip(SKIP_1) | instid1(VALU_DEP_3)
	v_dual_add_f32 v47, v47, v35 :: v_dual_add_f32 v46, v46, v32
	v_dual_fmamk_f32 v70, v57, 0xbeb58ec6, v68 :: v_dual_add_f32 v77, v42, v36
	v_fma_f32 v72, 0xbf3f9e67, v54, -v69
	s_delay_alu instid0(VALU_DEP_3) | instskip(SKIP_3) | instid1(VALU_DEP_4)
	v_dual_add_f32 v47, v47, v41 :: v_dual_add_f32 v46, v46, v34
	v_add_f32_e32 v59, v45, v59
	v_fma_f32 v68, 0xbeb58ec6, v57, -v68
	v_dual_add_f32 v70, v45, v70 :: v_dual_add_f32 v37, v43, v37
	v_dual_add_f32 v47, v47, v43 :: v_dual_add_f32 v46, v46, v40
	v_add_f32_e32 v64, v45, v64
	v_sub_f32_e32 v36, v36, v42
	v_fma_f32 v63, 0x3f62ad3f, v54, -v52
	s_delay_alu instid0(VALU_DEP_4) | instskip(SKIP_4) | instid1(VALU_DEP_3)
	v_dual_add_f32 v47, v47, v51 :: v_dual_add_f32 v46, v46, v42
	v_add_f32_e32 v51, v44, v67
	v_mul_f32_e32 v71, 0xbf29c268, v56
	v_fma_f32 v67, 0xbeb58ec6, v54, -v62
	v_dual_fmac_f32 v52, 0x3f62ad3f, v54 :: v_dual_add_f32 v63, v44, v63
	v_dual_add_f32 v46, v46, v50 :: v_dual_fmamk_f32 v73, v57, 0xbf3f9e67, v71
	v_add_f32_e32 v72, v44, v72
	v_fmac_f32_e32 v60, 0x3df6dbef, v54
	v_fmac_f32_e32 v69, 0xbf3f9e67, v54
	v_fmamk_f32 v50, v57, 0x3df6dbef, v61
	v_add_f32_e32 v73, v45, v73
	v_fma_f32 v71, 0xbf3f9e67, v57, -v71
	v_add_f32_e32 v60, v44, v60
	v_fmac_f32_e32 v62, 0xbeb58ec6, v54
	v_mul_f32_e32 v55, 0xbe750f2a, v55
	v_add_f32_e32 v69, v44, v69
	v_add_f32_e32 v71, v45, v71
	;; [unrolled: 1-line block ×3, first 2 shown]
	v_dual_add_f32 v62, v44, v62 :: v_dual_mul_f32 v43, 0xbf52af12, v36
	v_add_f32_e32 v68, v45, v68
	v_fma_f32 v74, 0xbf788fa5, v54, -v55
	v_fmac_f32_e32 v55, 0xbf788fa5, v54
	v_dual_add_f32 v66, v45, v66 :: v_dual_add_f32 v67, v44, v67
	v_fma_f32 v61, 0x3df6dbef, v57, -v61
	v_add_f32_e32 v52, v44, v52
	v_add_f32_e32 v74, v44, v74
	v_dual_add_f32 v44, v44, v55 :: v_dual_fmamk_f32 v55, v37, 0x3f116cb1, v43
	v_fma_f32 v43, 0x3f116cb1, v37, -v43
	v_dual_mul_f32 v78, 0xbf52af12, v75 :: v_dual_add_f32 v61, v45, v61
	v_mul_lo_u16 v95, v200, 13
	s_delay_alu instid0(VALU_DEP_4) | instskip(NEXT) | instid1(VALU_DEP_4)
	v_add_f32_e32 v55, v55, v64
	v_add_f32_e32 v43, v43, v53
	s_delay_alu instid0(VALU_DEP_4)
	v_fma_f32 v54, 0x3f116cb1, v77, -v78
	v_mul_f32_e32 v56, 0xbe750f2a, v56
	s_barrier
	buffer_gl0_inv
	v_fmamk_f32 v76, v57, 0xbf788fa5, v56
	v_fma_f32 v42, 0xbf788fa5, v57, -v56
	v_mul_f32_e32 v56, 0xbf6f5d39, v36
	s_delay_alu instid0(VALU_DEP_3) | instskip(NEXT) | instid1(VALU_DEP_3)
	v_add_f32_e32 v76, v45, v76
	v_dual_add_f32 v42, v45, v42 :: v_dual_add_f32 v45, v54, v63
	s_delay_alu instid0(VALU_DEP_3) | instskip(SKIP_3) | instid1(VALU_DEP_4)
	v_fmamk_f32 v53, v37, 0xbeb58ec6, v56
	v_mul_f32_e32 v54, 0xbf6f5d39, v75
	v_mul_f32_e32 v63, 0xbe750f2a, v75
	v_fma_f32 v56, 0xbeb58ec6, v37, -v56
	v_dual_mul_f32 v64, 0xbe750f2a, v36 :: v_dual_add_f32 v53, v53, v66
	s_delay_alu instid0(VALU_DEP_4) | instskip(SKIP_1) | instid1(VALU_DEP_3)
	v_fma_f32 v57, 0xbeb58ec6, v77, -v54
	v_fmac_f32_e32 v54, 0xbeb58ec6, v77
	v_dual_add_f32 v56, v56, v59 :: v_dual_fmamk_f32 v59, v37, 0xbf788fa5, v64
	s_delay_alu instid0(VALU_DEP_3)
	v_dual_mul_f32 v66, 0x3f7e222b, v36 :: v_dual_add_f32 v57, v57, v65
	v_fma_f32 v65, 0xbf788fa5, v77, -v63
	v_fmac_f32_e32 v78, 0x3f116cb1, v77
	v_add_f32_e32 v54, v54, v58
	v_mul_f32_e32 v58, 0x3f29c268, v75
	v_fmac_f32_e32 v63, 0xbf788fa5, v77
	s_delay_alu instid0(VALU_DEP_4) | instskip(SKIP_1) | instid1(VALU_DEP_4)
	v_dual_add_f32 v51, v65, v51 :: v_dual_add_f32 v52, v78, v52
	v_add_f32_e32 v50, v59, v50
	v_fma_f32 v65, 0xbf3f9e67, v77, -v58
	v_mul_f32_e32 v59, 0x3f29c268, v36
	v_add_f32_e32 v60, v63, v60
	s_delay_alu instid0(VALU_DEP_3) | instskip(NEXT) | instid1(VALU_DEP_3)
	v_dual_mul_f32 v36, 0x3eedf032, v36 :: v_dual_add_f32 v63, v65, v67
	v_fmamk_f32 v65, v37, 0xbf3f9e67, v59
	v_fma_f32 v59, 0xbf3f9e67, v37, -v59
	s_delay_alu instid0(VALU_DEP_2) | instskip(SKIP_1) | instid1(VALU_DEP_3)
	v_add_f32_e32 v65, v65, v70
	v_fma_f32 v64, 0xbf788fa5, v37, -v64
	v_dual_add_f32 v59, v59, v68 :: v_dual_fmac_f32 v58, 0xbf3f9e67, v77
	s_delay_alu instid0(VALU_DEP_2) | instskip(SKIP_1) | instid1(VALU_DEP_2)
	v_dual_mul_f32 v68, 0x3eedf032, v75 :: v_dual_add_f32 v61, v64, v61
	v_mul_f32_e32 v64, 0x3f7e222b, v75
	v_fma_f32 v70, 0x3f62ad3f, v77, -v68
	v_fmac_f32_e32 v68, 0x3f62ad3f, v77
	s_delay_alu instid0(VALU_DEP_3) | instskip(NEXT) | instid1(VALU_DEP_1)
	v_fma_f32 v67, 0x3df6dbef, v77, -v64
	v_dual_add_f32 v67, v67, v72 :: v_dual_fmac_f32 v64, 0x3df6dbef, v77
	v_fmamk_f32 v72, v37, 0x3f62ad3f, v36
	v_fma_f32 v36, 0x3f62ad3f, v37, -v36
	s_delay_alu instid0(VALU_DEP_3)
	v_add_f32_e32 v64, v64, v69
	v_sub_f32_e32 v69, v39, v41
	v_dual_add_f32 v39, v41, v39 :: v_dual_add_f32 v58, v58, v62
	v_dual_add_f32 v41, v68, v44 :: v_dual_fmamk_f32 v62, v37, 0x3df6dbef, v66
	v_fma_f32 v66, 0x3df6dbef, v37, -v66
	v_add_f32_e32 v36, v36, v42
	v_mul_f32_e32 v42, 0xbe750f2a, v69
	s_delay_alu instid0(VALU_DEP_3) | instskip(SKIP_1) | instid1(VALU_DEP_2)
	v_dual_add_f32 v66, v66, v71 :: v_dual_add_f32 v71, v40, v38
	v_sub_f32_e32 v38, v38, v40
	v_fma_f32 v68, 0xbf788fa5, v71, -v42
	s_delay_alu instid0(VALU_DEP_2) | instskip(SKIP_1) | instid1(VALU_DEP_2)
	v_mul_f32_e32 v40, 0xbf7e222b, v38
	v_fmac_f32_e32 v42, 0xbf788fa5, v71
	v_fmamk_f32 v44, v39, 0x3df6dbef, v40
	v_fma_f32 v40, 0x3df6dbef, v39, -v40
	s_delay_alu instid0(VALU_DEP_2) | instskip(SKIP_1) | instid1(VALU_DEP_3)
	v_add_f32_e32 v44, v44, v55
	v_add_f32_e32 v55, v68, v57
	v_dual_mul_f32 v57, 0x3f6f5d39, v69 :: v_dual_add_f32 v40, v40, v43
	s_delay_alu instid0(VALU_DEP_1) | instskip(SKIP_2) | instid1(VALU_DEP_3)
	v_fma_f32 v68, 0xbeb58ec6, v71, -v57
	v_dual_fmac_f32 v57, 0xbeb58ec6, v71 :: v_dual_add_f32 v62, v62, v73
	v_dual_mul_f32 v73, 0xbf7e222b, v69 :: v_dual_add_f32 v70, v70, v74
	v_add_f32_e32 v51, v68, v51
	s_delay_alu instid0(VALU_DEP_3) | instskip(NEXT) | instid1(VALU_DEP_3)
	v_add_f32_e32 v57, v57, v60
	v_fma_f32 v37, 0x3df6dbef, v71, -v73
	v_fmac_f32_e32 v73, 0x3df6dbef, v71
	s_delay_alu instid0(VALU_DEP_2) | instskip(SKIP_1) | instid1(VALU_DEP_1)
	v_add_f32_e32 v37, v37, v45
	v_mul_f32_e32 v45, 0xbe750f2a, v38
	v_fmamk_f32 v43, v39, 0xbf788fa5, v45
	v_fma_f32 v45, 0xbf788fa5, v39, -v45
	s_delay_alu instid0(VALU_DEP_2) | instskip(SKIP_1) | instid1(VALU_DEP_1)
	v_dual_add_f32 v43, v43, v53 :: v_dual_add_f32 v72, v72, v76
	v_mul_f32_e32 v53, 0x3f6f5d39, v38
	v_dual_add_f32 v45, v45, v56 :: v_dual_fmamk_f32 v56, v39, 0xbeb58ec6, v53
	v_fma_f32 v53, 0xbeb58ec6, v39, -v53
	s_delay_alu instid0(VALU_DEP_1) | instskip(SKIP_3) | instid1(VALU_DEP_2)
	v_dual_add_f32 v50, v56, v50 :: v_dual_add_f32 v53, v53, v61
	v_dual_mul_f32 v61, 0xbf52af12, v69 :: v_dual_add_f32 v42, v42, v54
	v_mul_f32_e32 v54, 0x3eedf032, v69
	v_mul_f32_e32 v56, 0x3eedf032, v38
	v_fma_f32 v68, 0x3f62ad3f, v71, -v54
	s_delay_alu instid0(VALU_DEP_1)
	v_dual_add_f32 v60, v68, v63 :: v_dual_fmamk_f32 v63, v39, 0x3f62ad3f, v56
	v_add_f32_e32 v52, v73, v52
	v_mul_f32_e32 v68, 0xbf52af12, v38
	v_fma_f32 v73, 0x3f116cb1, v71, -v61
	v_fmac_f32_e32 v61, 0x3f116cb1, v71
	v_dual_fmac_f32 v54, 0x3f62ad3f, v71 :: v_dual_add_f32 v63, v63, v65
	v_dual_mul_f32 v65, 0xbf29c268, v69 :: v_dual_mul_f32 v38, 0xbf29c268, v38
	s_delay_alu instid0(VALU_DEP_2) | instskip(SKIP_3) | instid1(VALU_DEP_2)
	v_dual_add_f32 v61, v61, v64 :: v_dual_add_f32 v54, v54, v58
	v_fmamk_f32 v58, v39, 0x3f116cb1, v68
	v_dual_sub_f32 v64, v29, v35 :: v_dual_add_f32 v29, v35, v29
	v_fma_f32 v56, 0x3f62ad3f, v39, -v56
	v_dual_mul_f32 v69, 0xbf6f5d39, v64 :: v_dual_add_f32 v58, v58, v62
	s_delay_alu instid0(VALU_DEP_2) | instskip(SKIP_3) | instid1(VALU_DEP_2)
	v_add_f32_e32 v56, v56, v59
	v_add_f32_e32 v59, v73, v67
	v_fma_f32 v62, 0x3f116cb1, v39, -v68
	v_fma_f32 v67, 0xbf3f9e67, v71, -v65
	v_dual_fmac_f32 v65, 0xbf3f9e67, v71 :: v_dual_add_f32 v62, v62, v66
	s_delay_alu instid0(VALU_DEP_2)
	v_dual_add_f32 v66, v67, v70 :: v_dual_add_f32 v67, v34, v28
	v_fmamk_f32 v68, v39, 0xbf3f9e67, v38
	v_sub_f32_e32 v28, v28, v34
	v_fma_f32 v34, 0xbf3f9e67, v39, -v38
	v_add_f32_e32 v39, v65, v41
	v_fma_f32 v38, 0xbeb58ec6, v67, -v69
	v_fmac_f32_e32 v69, 0xbeb58ec6, v67
	v_mul_f32_e32 v35, 0xbf6f5d39, v28
	v_add_f32_e32 v34, v34, v36
	s_delay_alu instid0(VALU_DEP_4) | instskip(SKIP_1) | instid1(VALU_DEP_4)
	v_dual_mul_f32 v41, 0x3f29c268, v28 :: v_dual_add_f32 v36, v38, v37
	v_mul_f32_e32 v37, 0x3f29c268, v64
	v_fmamk_f32 v38, v29, 0xbeb58ec6, v35
	v_fma_f32 v35, 0xbeb58ec6, v29, -v35
	s_delay_alu instid0(VALU_DEP_3) | instskip(NEXT) | instid1(VALU_DEP_3)
	v_fma_f32 v65, 0xbf3f9e67, v67, -v37
	v_add_f32_e32 v38, v38, v44
	v_add_f32_e32 v44, v69, v52
	s_delay_alu instid0(VALU_DEP_4) | instskip(NEXT) | instid1(VALU_DEP_4)
	v_dual_add_f32 v35, v35, v40 :: v_dual_fmamk_f32 v40, v29, 0xbf3f9e67, v41
	v_dual_add_f32 v52, v65, v55 :: v_dual_mul_f32 v55, 0x3eedf032, v64
	v_fmac_f32_e32 v37, 0xbf3f9e67, v67
	v_fma_f32 v41, 0xbf3f9e67, v29, -v41
	s_delay_alu instid0(VALU_DEP_3) | instskip(SKIP_3) | instid1(VALU_DEP_3)
	v_fma_f32 v65, 0x3f62ad3f, v67, -v55
	v_fmac_f32_e32 v55, 0x3f62ad3f, v67
	v_dual_add_f32 v40, v40, v43 :: v_dual_mul_f32 v43, 0x3eedf032, v28
	v_dual_add_f32 v68, v68, v72 :: v_dual_add_f32 v37, v37, v42
	v_add_f32_e32 v55, v55, v57
	v_mul_f32_e32 v57, 0x3e750f2a, v64
	v_add_f32_e32 v41, v41, v45
	v_fmamk_f32 v45, v29, 0x3f62ad3f, v43
	v_add_f32_e32 v51, v65, v51
	v_fma_f32 v43, 0x3f62ad3f, v29, -v43
	v_fma_f32 v69, 0xbf788fa5, v67, -v57
	v_fmac_f32_e32 v57, 0xbf788fa5, v67
	v_dual_mul_f32 v42, 0xbf7e222b, v64 :: v_dual_add_f32 v45, v45, v50
	s_delay_alu instid0(VALU_DEP_4) | instskip(NEXT) | instid1(VALU_DEP_3)
	v_dual_mul_f32 v50, 0xbf7e222b, v28 :: v_dual_add_f32 v43, v43, v53
	v_add_f32_e32 v57, v57, v61
	s_delay_alu instid0(VALU_DEP_3) | instskip(SKIP_2) | instid1(VALU_DEP_3)
	v_fma_f32 v65, 0x3df6dbef, v67, -v42
	v_sub_f32_e32 v61, v31, v33
	v_add_f32_e32 v31, v33, v31
	v_add_f32_e32 v53, v65, v60
	v_fmamk_f32 v60, v29, 0x3df6dbef, v50
	v_fmac_f32_e32 v42, 0x3df6dbef, v67
	v_mul_f32_e32 v65, 0x3e750f2a, v28
	v_fma_f32 v50, 0x3df6dbef, v29, -v50
	v_mul_f32_e32 v28, 0x3f52af12, v28
	v_add_f32_e32 v60, v60, v63
	v_add_f32_e32 v42, v42, v54
	v_fmamk_f32 v54, v29, 0xbf788fa5, v65
	v_add_f32_e32 v50, v50, v56
	v_dual_add_f32 v56, v69, v59 :: v_dual_mul_f32 v59, 0x3f52af12, v64
	v_fmamk_f32 v64, v29, 0x3f116cb1, v28
	s_delay_alu instid0(VALU_DEP_4)
	v_add_f32_e32 v54, v54, v58
	v_fma_f32 v58, 0xbf788fa5, v29, -v65
	v_mul_f32_e32 v65, 0xbf29c268, v61
	v_fma_f32 v63, 0x3f116cb1, v67, -v59
	v_fmac_f32_e32 v59, 0x3f116cb1, v67
	v_fma_f32 v28, 0x3f116cb1, v29, -v28
	v_add_f32_e32 v58, v58, v62
	s_delay_alu instid0(VALU_DEP_4) | instskip(SKIP_1) | instid1(VALU_DEP_4)
	v_add_f32_e32 v62, v63, v66
	v_dual_add_f32 v63, v32, v30 :: v_dual_sub_f32 v30, v30, v32
	v_dual_add_f32 v33, v59, v39 :: v_dual_add_f32 v28, v28, v34
	v_mul_f32_e32 v34, 0x3f7e222b, v61
	s_delay_alu instid0(VALU_DEP_3) | instskip(NEXT) | instid1(VALU_DEP_4)
	v_fma_f32 v29, 0xbf3f9e67, v63, -v65
	v_mul_f32_e32 v32, 0xbf29c268, v30
	v_mul_f32_e32 v39, 0x3f7e222b, v30
	v_fmac_f32_e32 v65, 0xbf3f9e67, v63
	v_fma_f32 v59, 0x3df6dbef, v63, -v34
	s_delay_alu instid0(VALU_DEP_4) | instskip(SKIP_2) | instid1(VALU_DEP_3)
	v_dual_add_f32 v29, v29, v36 :: v_dual_fmamk_f32 v36, v31, 0xbf3f9e67, v32
	v_fma_f32 v32, 0xbf3f9e67, v31, -v32
	v_fmac_f32_e32 v34, 0x3df6dbef, v63
	v_add_f32_e32 v36, v36, v38
	s_delay_alu instid0(VALU_DEP_3) | instskip(SKIP_2) | instid1(VALU_DEP_3)
	v_dual_add_f32 v32, v32, v35 :: v_dual_fmamk_f32 v35, v31, 0x3df6dbef, v39
	v_fma_f32 v39, 0x3df6dbef, v31, -v39
	v_add_f32_e32 v38, v65, v44
	v_dual_add_f32 v34, v34, v37 :: v_dual_add_f32 v35, v35, v40
	s_delay_alu instid0(VALU_DEP_3) | instskip(SKIP_3) | instid1(VALU_DEP_2)
	v_add_f32_e32 v37, v39, v41
	v_dual_mul_f32 v39, 0x3e750f2a, v61 :: v_dual_add_f32 v44, v59, v52
	v_mul_f32_e32 v52, 0xbf52af12, v61
	v_mul_f32_e32 v40, 0xbf52af12, v30
	v_fma_f32 v59, 0x3f116cb1, v63, -v52
	s_delay_alu instid0(VALU_DEP_2) | instskip(SKIP_1) | instid1(VALU_DEP_3)
	v_fmamk_f32 v41, v31, 0x3f116cb1, v40
	v_fma_f32 v40, 0x3f116cb1, v31, -v40
	v_dual_add_f32 v51, v59, v51 :: v_dual_add_f32 v64, v64, v68
	v_fma_f32 v59, 0xbf788fa5, v63, -v39
	s_delay_alu instid0(VALU_DEP_3)
	v_add_f32_e32 v40, v40, v43
	v_fmac_f32_e32 v39, 0xbf788fa5, v63
	v_add_f32_e32 v41, v41, v45
	v_mul_f32_e32 v45, 0x3e750f2a, v30
	v_add_f32_e32 v43, v59, v53
	v_mul_f32_e32 v53, 0x3eedf032, v61
	v_dual_add_f32 v39, v39, v42 :: v_dual_fmac_f32 v52, 0x3f116cb1, v63
	v_mul_f32_e32 v59, 0x3eedf032, v30
	v_mul_f32_e32 v30, 0xbf6f5d39, v30
	s_delay_alu instid0(VALU_DEP_4) | instskip(SKIP_1) | instid1(VALU_DEP_1)
	v_fma_f32 v65, 0x3f62ad3f, v63, -v53
	v_fmac_f32_e32 v53, 0x3f62ad3f, v63
	v_dual_fmamk_f32 v42, v31, 0x3f62ad3f, v59 :: v_dual_add_f32 v53, v53, v57
	v_sub_f32_e32 v57, v25, v27
	v_dual_add_f32 v52, v52, v55 :: v_dual_fmamk_f32 v55, v31, 0xbf788fa5, v45
	v_fma_f32 v45, 0xbf788fa5, v31, -v45
	s_delay_alu instid0(VALU_DEP_4) | instskip(SKIP_1) | instid1(VALU_DEP_4)
	v_dual_add_f32 v27, v27, v25 :: v_dual_add_f32 v42, v42, v54
	v_fma_f32 v54, 0x3f62ad3f, v31, -v59
	v_add_f32_e32 v55, v55, v60
	s_delay_alu instid0(VALU_DEP_4)
	v_add_f32_e32 v45, v45, v50
	v_add_f32_e32 v50, v65, v56
	v_mul_f32_e32 v56, 0xbf6f5d39, v61
	v_dual_mul_f32 v61, 0xbe750f2a, v57 :: v_dual_add_f32 v54, v54, v58
	v_fmamk_f32 v60, v31, 0xbeb58ec6, v30
	v_mul_f32_e32 v89, 0x3f7e222b, v57
	s_delay_alu instid0(VALU_DEP_4) | instskip(SKIP_1) | instid1(VALU_DEP_2)
	v_fma_f32 v59, 0xbeb58ec6, v63, -v56
	v_sub_f32_e32 v65, v12, v14
	v_dual_add_f32 v58, v59, v62 :: v_dual_add_f32 v59, v26, v24
	v_sub_f32_e32 v26, v24, v26
	v_fma_f32 v24, 0xbeb58ec6, v31, -v30
	s_delay_alu instid0(VALU_DEP_3) | instskip(NEXT) | instid1(VALU_DEP_2)
	v_fma_f32 v30, 0xbf788fa5, v59, -v61
	v_dual_mul_f32 v25, 0xbe750f2a, v26 :: v_dual_add_f32 v88, v24, v28
	v_mul_f32_e32 v31, 0x3eedf032, v26
	s_delay_alu instid0(VALU_DEP_3) | instskip(NEXT) | instid1(VALU_DEP_3)
	v_dual_fmac_f32 v61, 0xbf788fa5, v59 :: v_dual_add_f32 v24, v30, v29
	v_fma_f32 v30, 0xbf788fa5, v27, -v25
	v_fmamk_f32 v29, v27, 0xbf788fa5, v25
	s_delay_alu instid0(VALU_DEP_2) | instskip(SKIP_1) | instid1(VALU_DEP_3)
	v_add_f32_e32 v67, v30, v32
	v_add_f32_e32 v60, v60, v64
	;; [unrolled: 1-line block ×3, first 2 shown]
	v_fmamk_f32 v29, v27, 0x3f62ad3f, v31
	v_mul_f32_e32 v30, 0xbf29c268, v57
	v_fma_f32 v31, 0x3f62ad3f, v27, -v31
	v_fmac_f32_e32 v56, 0xbeb58ec6, v63
	s_delay_alu instid0(VALU_DEP_4) | instskip(SKIP_4) | instid1(VALU_DEP_4)
	v_dual_sub_f32 v64, v18, v8 :: v_dual_add_f32 v69, v29, v35
	v_mul_f32_e32 v29, 0xbf29c268, v26
	v_fma_f32 v32, 0xbf3f9e67, v59, -v30
	v_dual_add_f32 v71, v31, v37 :: v_dual_fmac_f32 v30, 0xbf3f9e67, v59
	v_add_f32_e32 v87, v56, v33
	v_dual_fmamk_f32 v31, v27, 0xbf3f9e67, v29 :: v_dual_add_f32 v66, v61, v38
	s_delay_alu instid0(VALU_DEP_4) | instskip(NEXT) | instid1(VALU_DEP_4)
	v_add_f32_e32 v72, v32, v51
	v_add_f32_e32 v74, v30, v52
	v_fma_f32 v29, 0xbf3f9e67, v27, -v29
	s_delay_alu instid0(VALU_DEP_4) | instskip(SKIP_2) | instid1(VALU_DEP_4)
	v_add_f32_e32 v73, v31, v41
	v_mul_f32_e32 v31, 0x3f52af12, v26
	v_dual_sub_f32 v61, v20, v6 :: v_dual_sub_f32 v56, v21, v7
	v_add_f32_e32 v75, v29, v40
	v_mul_f32_e32 v29, 0xbf6f5d39, v57
	s_delay_alu instid0(VALU_DEP_4)
	v_fmamk_f32 v30, v27, 0x3f116cb1, v31
	v_mul_f32_e32 v28, 0x3eedf032, v57
	v_fma_f32 v31, 0x3f116cb1, v27, -v31
	v_mul_f32_e32 v51, 0xbf29c268, v64
	v_sub_f32_e32 v63, v16, v10
	v_add_f32_e32 v77, v30, v55
	v_fma_f32 v33, 0x3f62ad3f, v59, -v28
	v_dual_fmac_f32 v28, 0x3f62ad3f, v59 :: v_dual_add_f32 v79, v31, v45
	v_mul_f32_e32 v52, 0xbf52af12, v61
	s_delay_alu instid0(VALU_DEP_3) | instskip(NEXT) | instid1(VALU_DEP_3)
	v_dual_mul_f32 v45, 0xbf6f5d39, v63 :: v_dual_add_f32 v68, v33, v44
	v_add_f32_e32 v70, v28, v34
	v_mul_f32_e32 v28, 0x3f52af12, v57
	v_fma_f32 v33, 0xbeb58ec6, v59, -v29
	v_fmac_f32_e32 v29, 0xbeb58ec6, v59
	v_sub_f32_e32 v57, v23, v5
	v_sub_f32_e32 v55, v13, v15
	v_fma_f32 v32, 0x3f116cb1, v59, -v28
	v_add_f32_e32 v80, v33, v50
	v_add_f32_e32 v82, v29, v53
	v_fma_f32 v29, 0x3df6dbef, v59, -v89
	s_delay_alu instid0(VALU_DEP_4) | instskip(SKIP_1) | instid1(VALU_DEP_3)
	v_dual_sub_f32 v53, v3, v49 :: v_dual_add_f32 v76, v32, v43
	v_mul_f32_e32 v32, 0xbf6f5d39, v26
	v_dual_mul_f32 v40, 0xbf7e222b, v57 :: v_dual_add_f32 v85, v29, v58
	s_delay_alu instid0(VALU_DEP_3) | instskip(SKIP_1) | instid1(VALU_DEP_4)
	v_mul_f32_e32 v38, 0xbeedf032, v53
	v_sub_f32_e32 v58, v17, v11
	v_dual_fmamk_f32 v30, v27, 0xbeb58ec6, v32 :: v_dual_add_f32 v29, v49, v3
	v_fmac_f32_e32 v89, 0x3df6dbef, v59
	s_delay_alu instid0(VALU_DEP_3) | instskip(NEXT) | instid1(VALU_DEP_3)
	v_mul_f32_e32 v41, 0xbf6f5d39, v58
	v_dual_add_f32 v81, v30, v42 :: v_dual_fmac_f32 v28, 0x3f116cb1, v59
	v_sub_f32_e32 v59, v19, v9
	s_delay_alu instid0(VALU_DEP_4) | instskip(NEXT) | instid1(VALU_DEP_3)
	v_add_f32_e32 v87, v89, v87
	v_dual_add_f32 v78, v28, v39 :: v_dual_mul_f32 v39, 0xbf52af12, v56
	v_mul_f32_e32 v28, 0x3f7e222b, v26
	v_fma_f32 v26, 0xbeb58ec6, v27, -v32
	v_mul_f32_e32 v42, 0xbf29c268, v59
	s_delay_alu instid0(VALU_DEP_2) | instskip(SKIP_3) | instid1(VALU_DEP_4)
	v_dual_fmamk_f32 v30, v27, 0x3df6dbef, v28 :: v_dual_add_f32 v83, v26, v54
	v_add_f32_e32 v26, v48, v2
	v_fma_f32 v90, 0x3df6dbef, v27, -v28
	v_add_f32_e32 v28, v4, v22
	v_add_f32_e32 v86, v30, v60
	v_sub_f32_e32 v60, v2, v48
	v_fmamk_f32 v30, v26, 0x3f62ad3f, v38
	v_add_f32_e32 v27, v6, v20
	v_dual_fmamk_f32 v35, v28, 0x3df6dbef, v40 :: v_dual_add_f32 v88, v90, v88
	s_delay_alu instid0(VALU_DEP_4) | instskip(NEXT) | instid1(VALU_DEP_4)
	v_mul_f32_e32 v50, 0xbeedf032, v60
	v_dual_add_f32 v31, v30, v0 :: v_dual_add_f32 v30, v7, v21
	s_delay_alu instid0(VALU_DEP_4) | instskip(NEXT) | instid1(VALU_DEP_3)
	v_fmamk_f32 v33, v27, 0x3f116cb1, v39
	v_fma_f32 v32, 0x3f62ad3f, v29, -v50
	s_delay_alu instid0(VALU_DEP_3) | instskip(NEXT) | instid1(VALU_DEP_3)
	v_fma_f32 v34, 0x3f116cb1, v30, -v52
	v_add_f32_e32 v33, v33, v31
	s_delay_alu instid0(VALU_DEP_3) | instskip(NEXT) | instid1(VALU_DEP_2)
	v_dual_add_f32 v31, v5, v23 :: v_dual_add_f32 v32, v32, v1
	v_add_f32_e32 v36, v35, v33
	s_delay_alu instid0(VALU_DEP_2) | instskip(SKIP_2) | instid1(VALU_DEP_3)
	v_dual_add_f32 v33, v11, v17 :: v_dual_add_f32 v34, v34, v32
	v_add_f32_e32 v32, v10, v16
	v_sub_f32_e32 v62, v22, v4
	v_fma_f32 v54, 0xbeb58ec6, v33, -v45
	s_delay_alu instid0(VALU_DEP_3) | instskip(NEXT) | instid1(VALU_DEP_1)
	v_fmamk_f32 v43, v32, 0xbeb58ec6, v41
	v_dual_mul_f32 v44, 0xbf7e222b, v62 :: v_dual_add_f32 v91, v43, v36
	s_delay_alu instid0(VALU_DEP_1) | instskip(SKIP_1) | instid1(VALU_DEP_2)
	v_fma_f32 v35, 0x3df6dbef, v31, -v44
	v_dual_add_f32 v36, v14, v12 :: v_dual_mul_f32 v43, 0xbe750f2a, v55
	v_add_f32_e32 v37, v35, v34
	v_dual_add_f32 v34, v8, v18 :: v_dual_add_f32 v35, v9, v19
	s_delay_alu instid0(VALU_DEP_1) | instskip(NEXT) | instid1(VALU_DEP_2)
	v_fmamk_f32 v93, v34, 0xbf3f9e67, v42
	v_fma_f32 v94, 0xbf3f9e67, v35, -v51
	s_delay_alu instid0(VALU_DEP_2) | instskip(SKIP_2) | instid1(VALU_DEP_2)
	v_add_f32_e32 v91, v93, v91
	v_dual_fmamk_f32 v93, v36, 0xbf788fa5, v43 :: v_dual_add_f32 v92, v54, v37
	v_add_f32_e32 v37, v15, v13
	v_dual_mul_f32 v54, 0xbe750f2a, v65 :: v_dual_add_f32 v195, v93, v91
	s_delay_alu instid0(VALU_DEP_3) | instskip(SKIP_1) | instid1(VALU_DEP_3)
	v_add_f32_e32 v92, v94, v92
	v_and_b32_e32 v94, 0xffff, v95
	v_fma_f32 v95, 0xbf788fa5, v37, -v54
	s_delay_alu instid0(VALU_DEP_2) | instskip(NEXT) | instid1(VALU_DEP_2)
	v_lshl_add_u32 v212, v94, 3, v201
	v_add_f32_e32 v196, v95, v92
	ds_store_2addr_b64 v212, v[46:47], v[24:25] offset1:1
	ds_store_2addr_b64 v212, v[68:69], v[72:73] offset0:2 offset1:3
	v_mul_u32_u24_e32 v24, 13, v84
	scratch_store_b32 off, v24, off offset:48 ; 4-byte Folded Spill
	ds_store_2addr_b64 v212, v[76:77], v[80:81] offset0:4 offset1:5
	ds_store_2addr_b64 v212, v[85:86], v[87:88] offset0:6 offset1:7
	;; [unrolled: 1-line block ×4, first 2 shown]
	ds_store_b64 v212, v[66:67] offset:96
	s_and_saveexec_b32 s2, vcc_lo
	s_cbranch_execz .LBB0_7
; %bb.6:
	v_mul_f32_e32 v86, 0x3eedf032, v56
	v_dual_mul_f32 v90, 0xbf29c268, v60 :: v_dual_mul_f32 v97, 0xbf29c268, v53
	v_dual_mul_f32 v102, 0xbf6f5d39, v60 :: v_dual_mul_f32 v109, 0xbf6f5d39, v55
	s_delay_alu instid0(VALU_DEP_3)
	v_fma_f32 v47, 0x3f62ad3f, v27, -v86
	v_mul_f32_e32 v68, 0xbe750f2a, v60
	v_mul_f32_e32 v72, 0x3eedf032, v61
	;; [unrolled: 1-line block ×3, first 2 shown]
	v_fmamk_f32 v104, v29, 0xbeb58ec6, v102
	v_mul_f32_e32 v105, 0x3f29c268, v61
	v_dual_fmamk_f32 v24, v29, 0xbf788fa5, v68 :: v_dual_mul_f32 v85, 0xbf788fa5, v36
	v_fmamk_f32 v66, v29, 0xbf3f9e67, v90
	v_mul_f32_e32 v71, 0x3f116cb1, v27
	v_dual_fmamk_f32 v67, v30, 0x3df6dbef, v92 :: v_dual_add_f32 v104, v104, v1
	s_delay_alu instid0(VALU_DEP_4) | instskip(NEXT) | instid1(VALU_DEP_4)
	v_dual_add_f32 v24, v24, v1 :: v_dual_fmamk_f32 v107, v30, 0xbf3f9e67, v105
	v_dual_mul_f32 v83, 0xbf6f5d39, v64 :: v_dual_add_f32 v66, v66, v1
	v_fmamk_f32 v25, v30, 0x3f62ad3f, v72
	v_mul_f32_e32 v73, 0x3f116cb1, v30
	v_mul_f32_e32 v98, 0x3eedf032, v64
	;; [unrolled: 1-line block ×3, first 2 shown]
	s_delay_alu instid0(VALU_DEP_4) | instskip(SKIP_1) | instid1(VALU_DEP_3)
	v_dual_mul_f32 v81, 0xbf3f9e67, v35 :: v_dual_add_f32 v24, v25, v24
	v_dual_mul_f32 v75, 0xbf29c268, v62 :: v_dual_mul_f32 v88, 0xbf29c268, v57
	v_fma_f32 v112, 0xbeb58ec6, v26, -v110
	v_fmamk_f32 v100, v35, 0x3f62ad3f, v98
	v_mul_f32_e32 v82, 0xbe750f2a, v53
	s_delay_alu instid0(VALU_DEP_4) | instskip(SKIP_3) | instid1(VALU_DEP_4)
	v_fmamk_f32 v46, v31, 0xbf3f9e67, v75
	v_mul_f32_e32 v93, 0xbf6f5d39, v59
	v_dual_mul_f32 v94, 0xbf52af12, v62 :: v_dual_mul_f32 v101, 0xbf52af12, v57
	v_dual_mul_f32 v96, 0x3e750f2a, v63 :: v_dual_mul_f32 v103, 0x3e750f2a, v58
	v_dual_add_f32 v24, v46, v24 :: v_dual_mul_f32 v79, 0x3f52af12, v63
	v_fma_f32 v46, 0xbf788fa5, v26, -v82
	v_fma_f32 v95, 0xbeb58ec6, v34, -v93
	v_mul_f32_e32 v99, 0x3f7e222b, v56
	v_mul_f32_e32 v115, 0x3f52af12, v65
	s_delay_alu instid0(VALU_DEP_4) | instskip(SKIP_2) | instid1(VALU_DEP_4)
	v_dual_fmamk_f32 v25, v33, 0x3f116cb1, v79 :: v_dual_add_f32 v46, v46, v0
	v_mul_f32_e32 v124, 0xbf52af12, v64
	v_fma_f32 v111, 0xbeb58ec6, v36, -v109
	v_fmamk_f32 v117, v37, 0x3f116cb1, v115
	s_delay_alu instid0(VALU_DEP_4)
	v_dual_add_f32 v24, v25, v24 :: v_dual_fmamk_f32 v25, v35, 0xbeb58ec6, v83
	v_mul_f32_e32 v87, 0xbf788fa5, v37
	v_fmamk_f32 v128, v35, 0x3f116cb1, v124
	v_mul_f32_e32 v106, 0x3eedf032, v59
	v_mul_f32_e32 v116, 0xbf7e222b, v60
	v_dual_add_f32 v24, v25, v24 :: v_dual_add_f32 v25, v47, v46
	v_fma_f32 v46, 0xbf3f9e67, v28, -v88
	v_mul_f32_e32 v76, 0x3df6dbef, v31
	v_mul_f32_e32 v120, 0x3e750f2a, v59
	v_fmamk_f32 v118, v29, 0x3df6dbef, v116
	v_mul_f32_e32 v114, 0x3eedf032, v57
	v_add_f32_e32 v25, v46, v25
	v_mul_f32_e32 v91, 0x3f52af12, v58
	v_fma_f32 v123, 0xbf788fa5, v34, -v120
	v_mul_f32_e32 v108, 0x3eedf032, v62
	v_mul_f32_e32 v131, 0xbf6f5d39, v61
	;; [unrolled: 1-line block ×3, first 2 shown]
	v_fma_f32 v46, 0x3f116cb1, v32, -v91
	v_mul_f32_e32 v126, 0xbe750f2a, v56
	v_dual_mul_f32 v62, 0xbe750f2a, v62 :: v_dual_add_f32 v3, v3, v1
	v_fmamk_f32 v132, v30, 0xbeb58ec6, v131
	s_delay_alu instid0(VALU_DEP_4) | instskip(SKIP_1) | instid1(VALU_DEP_4)
	v_add_f32_e32 v46, v46, v25
	v_mul_f32_e32 v89, 0x3f7e222b, v65
	v_dual_mul_f32 v130, 0x3f6f5d39, v57 :: v_dual_add_f32 v3, v21, v3
	s_delay_alu instid0(VALU_DEP_3) | instskip(NEXT) | instid1(VALU_DEP_3)
	v_dual_mul_f32 v57, 0xbe750f2a, v57 :: v_dual_add_f32 v46, v95, v46
	v_dual_mul_f32 v74, 0x3df6dbef, v28 :: v_dual_fmamk_f32 v47, v37, 0x3df6dbef, v89
	v_mul_f32_e32 v95, 0x3f7e222b, v55
	v_fma_f32 v129, 0xbf788fa5, v27, -v126
	v_dual_mul_f32 v69, 0x3f62ad3f, v26 :: v_dual_mul_f32 v70, 0x3f62ad3f, v29
	s_delay_alu instid0(VALU_DEP_4)
	v_add_f32_e32 v25, v47, v24
	v_add_f32_e32 v24, v67, v66
	v_fmamk_f32 v47, v31, 0x3f116cb1, v94
	v_fma_f32 v66, 0x3df6dbef, v36, -v95
	v_fma_f32 v67, 0xbf3f9e67, v26, -v97
	v_dual_add_f32 v52, v52, v73 :: v_dual_mul_f32 v21, 0x3eedf032, v55
	s_delay_alu instid0(VALU_DEP_4) | instskip(SKIP_3) | instid1(VALU_DEP_4)
	v_dual_add_f32 v24, v47, v24 :: v_dual_fmamk_f32 v47, v33, 0xbf788fa5, v96
	v_mul_f32_e32 v80, 0xbf3f9e67, v34
	v_dual_mul_f32 v77, 0xbeb58ec6, v32 :: v_dual_mul_f32 v78, 0xbeb58ec6, v33
	v_add_f32_e32 v44, v44, v76
	v_dual_add_f32 v47, v47, v24 :: v_dual_add_f32 v24, v66, v46
	v_add_f32_e32 v46, v67, v0
	v_fma_f32 v66, 0x3df6dbef, v27, -v99
	v_fmac_f32_e32 v126, 0xbf788fa5, v27
	v_mul_f32_e32 v119, 0xbe750f2a, v61
	v_dual_add_f32 v118, v118, v1 :: v_dual_mul_f32 v113, 0x3f29c268, v56
	s_delay_alu instid0(VALU_DEP_4) | instskip(SKIP_1) | instid1(VALU_DEP_4)
	v_add_f32_e32 v46, v66, v46
	v_fma_f32 v66, 0x3f116cb1, v28, -v101
	v_fmamk_f32 v121, v30, 0xbf788fa5, v119
	v_dual_mul_f32 v56, 0xbf6f5d39, v56 :: v_dual_add_f32 v3, v23, v3
	v_fma_f32 v23, 0x3f62ad3f, v36, -v21
	s_delay_alu instid0(VALU_DEP_4) | instskip(SKIP_3) | instid1(VALU_DEP_3)
	v_add_f32_e32 v46, v66, v46
	v_fma_f32 v66, 0xbf788fa5, v32, -v103
	v_dual_fmac_f32 v21, 0x3f62ad3f, v36 :: v_dual_add_f32 v50, v50, v70
	v_add_f32_e32 v3, v17, v3
	v_dual_add_f32 v17, v51, v81 :: v_dual_add_f32 v46, v66, v46
	v_fma_f32 v66, 0x3f62ad3f, v34, -v106
	s_delay_alu instid0(VALU_DEP_3) | instskip(SKIP_2) | instid1(VALU_DEP_4)
	v_dual_add_f32 v50, v50, v1 :: v_dual_add_f32 v3, v19, v3
	v_fmac_f32_e32 v99, 0x3df6dbef, v27
	v_fmac_f32_e32 v97, 0xbf3f9e67, v26
	v_add_f32_e32 v46, v66, v46
	s_delay_alu instid0(VALU_DEP_4) | instskip(SKIP_2) | instid1(VALU_DEP_4)
	v_dual_add_f32 v50, v52, v50 :: v_dual_add_f32 v3, v13, v3
	v_sub_f32_e32 v13, v74, v40
	v_add_f32_e32 v2, v2, v0
	v_dual_add_f32 v46, v111, v46 :: v_dual_add_f32 v111, v112, v0
	v_dual_add_f32 v47, v100, v47 :: v_dual_mul_f32 v100, 0xbf6f5d39, v65
	v_fma_f32 v112, 0xbf3f9e67, v27, -v113
	s_delay_alu instid0(VALU_DEP_4) | instskip(NEXT) | instid1(VALU_DEP_3)
	v_dual_add_f32 v3, v15, v3 :: v_dual_add_f32 v2, v20, v2
	v_dual_add_f32 v44, v44, v50 :: v_dual_fmamk_f32 v67, v37, 0xbeb58ec6, v100
	v_fmac_f32_e32 v91, 0x3f116cb1, v32
	s_delay_alu instid0(VALU_DEP_3) | instskip(SKIP_1) | instid1(VALU_DEP_4)
	v_dual_add_f32 v3, v9, v3 :: v_dual_add_f32 v2, v22, v2
	v_fma_f32 v9, 0x3f62ad3f, v30, -v72
	v_add_f32_e32 v47, v67, v47
	v_add_f32_e32 v67, v107, v104
	v_fmamk_f32 v104, v31, 0x3f62ad3f, v108
	v_add_f32_e32 v3, v11, v3
	v_dual_sub_f32 v11, v85, v43 :: v_dual_add_f32 v2, v16, v2
	v_fmac_f32_e32 v86, 0x3f62ad3f, v27
	s_delay_alu instid0(VALU_DEP_4) | instskip(SKIP_3) | instid1(VALU_DEP_3)
	v_add_f32_e32 v66, v104, v67
	v_mul_f32_e32 v107, 0xbf7e222b, v63
	v_mul_f32_e32 v104, 0x3e750f2a, v64
	v_dual_mul_f32 v64, 0x3f7e222b, v64 :: v_dual_add_f32 v5, v5, v3
	v_dual_add_f32 v2, v18, v2 :: v_dual_fmamk_f32 v67, v33, 0x3df6dbef, v107
	v_add_f32_e32 v22, v45, v78
	v_sub_f32_e32 v18, v71, v39
	s_delay_alu instid0(VALU_DEP_3) | instskip(NEXT) | instid1(VALU_DEP_4)
	v_dual_add_f32 v5, v7, v5 :: v_dual_add_f32 v2, v12, v2
	v_add_f32_e32 v66, v67, v66
	s_delay_alu instid0(VALU_DEP_4) | instskip(SKIP_1) | instid1(VALU_DEP_4)
	v_dual_fmamk_f32 v67, v35, 0xbf788fa5, v104 :: v_dual_add_f32 v16, v22, v44
	v_fma_f32 v7, 0xbeb58ec6, v35, -v83
	v_dual_add_f32 v2, v14, v2 :: v_dual_fmac_f32 v103, 0xbf788fa5, v32
	s_delay_alu instid0(VALU_DEP_3) | instskip(SKIP_4) | instid1(VALU_DEP_4)
	v_dual_add_f32 v66, v67, v66 :: v_dual_add_f32 v67, v112, v111
	v_fma_f32 v111, 0x3f62ad3f, v28, -v114
	v_mul_f32_e32 v112, 0xbf7e222b, v58
	v_fma_f32 v14, 0xbf788fa5, v29, -v68
	v_dual_add_f32 v2, v8, v2 :: v_dual_fmac_f32 v95, 0x3df6dbef, v36
	v_add_f32_e32 v67, v111, v67
	s_delay_alu instid0(VALU_DEP_4) | instskip(NEXT) | instid1(VALU_DEP_4)
	v_fma_f32 v111, 0x3df6dbef, v32, -v112
	v_dual_add_f32 v8, v14, v1 :: v_dual_fmac_f32 v113, 0xbf3f9e67, v27
	v_fma_f32 v14, 0xbf788fa5, v30, -v119
	s_delay_alu instid0(VALU_DEP_3) | instskip(SKIP_3) | instid1(VALU_DEP_4)
	v_dual_add_f32 v2, v10, v2 :: v_dual_add_f32 v111, v111, v67
	v_add_f32_e32 v67, v117, v66
	v_dual_add_f32 v66, v121, v118 :: v_dual_mul_f32 v121, 0xbf7e222b, v53
	v_mul_f32_e32 v118, 0x3eedf032, v63
	v_add_f32_e32 v111, v123, v111
	v_dual_mul_f32 v123, 0x3f52af12, v55 :: v_dual_add_f32 v8, v9, v8
	s_delay_alu instid0(VALU_DEP_4) | instskip(SKIP_2) | instid1(VALU_DEP_4)
	v_fma_f32 v125, 0x3df6dbef, v26, -v121
	v_fma_f32 v9, 0xbf3f9e67, v31, -v75
	v_fmac_f32_e32 v106, 0x3f62ad3f, v34
	v_fma_f32 v127, 0x3f116cb1, v36, -v123
	v_dual_add_f32 v4, v4, v2 :: v_dual_fmac_f32 v109, 0xbeb58ec6, v36
	v_add_f32_e32 v125, v125, v0
	v_dual_fmamk_f32 v117, v31, 0xbeb58ec6, v122 :: v_dual_add_f32 v8, v9, v8
	v_fma_f32 v9, 0x3f116cb1, v33, -v79
	v_fmac_f32_e32 v110, 0xbeb58ec6, v26
	v_add_f32_e32 v4, v6, v4
	s_delay_alu instid0(VALU_DEP_4) | instskip(SKIP_4) | instid1(VALU_DEP_4)
	v_add_f32_e32 v66, v117, v66
	v_fmamk_f32 v117, v33, 0x3f62ad3f, v118
	v_dual_add_f32 v6, v9, v8 :: v_dual_fmac_f32 v121, 0x3df6dbef, v26
	v_fmac_f32_e32 v82, 0xbf788fa5, v26
	v_fma_f32 v8, 0xbf3f9e67, v29, -v90
	v_dual_add_f32 v117, v117, v66 :: v_dual_add_f32 v66, v127, v111
	s_delay_alu instid0(VALU_DEP_4) | instskip(SKIP_1) | instid1(VALU_DEP_3)
	v_add_f32_e32 v15, v121, v0
	v_mul_f32_e32 v127, 0x3eedf032, v58
	v_dual_mul_f32 v58, 0x3f29c268, v58 :: v_dual_add_f32 v111, v128, v117
	v_dual_mul_f32 v117, 0xbf52af12, v60 :: v_dual_add_f32 v60, v129, v125
	v_fma_f32 v125, 0xbeb58ec6, v28, -v130
	v_mul_f32_e32 v128, 0xbf29c268, v65
	v_fma_f32 v61, 0x3f62ad3f, v32, -v127
	s_delay_alu instid0(VALU_DEP_4) | instskip(NEXT) | instid1(VALU_DEP_4)
	v_fmamk_f32 v129, v29, 0x3f116cb1, v117
	v_dual_mul_f32 v65, 0x3eedf032, v65 :: v_dual_add_f32 v60, v125, v60
	v_mul_f32_e32 v125, 0xbf52af12, v59
	v_fmamk_f32 v133, v37, 0xbf3f9e67, v128
	s_delay_alu instid0(VALU_DEP_4) | instskip(NEXT) | instid1(VALU_DEP_4)
	v_add_f32_e32 v129, v129, v1
	v_fmamk_f32 v136, v37, 0x3f62ad3f, v65
	v_add_f32_e32 v60, v61, v60
	v_fma_f32 v134, 0x3f116cb1, v34, -v125
	v_add_f32_e32 v61, v133, v111
	v_dual_add_f32 v129, v132, v129 :: v_dual_fmamk_f32 v132, v31, 0xbf788fa5, v62
	v_mul_f32_e32 v111, 0xbf52af12, v53
	s_delay_alu instid0(VALU_DEP_4) | instskip(SKIP_1) | instid1(VALU_DEP_4)
	v_add_f32_e32 v53, v134, v60
	v_fma_f32 v134, 0xbeb58ec6, v27, -v56
	v_dual_mul_f32 v59, 0x3f7e222b, v59 :: v_dual_add_f32 v60, v132, v129
	s_delay_alu instid0(VALU_DEP_4) | instskip(SKIP_2) | instid1(VALU_DEP_4)
	v_fma_f32 v132, 0x3f116cb1, v26, -v111
	v_dual_mul_f32 v63, 0x3f29c268, v63 :: v_dual_sub_f32 v38, v69, v38
	v_add_f32_e32 v9, v82, v0
	v_fma_f32 v73, 0x3df6dbef, v34, -v59
	s_delay_alu instid0(VALU_DEP_4) | instskip(SKIP_3) | instid1(VALU_DEP_4)
	v_add_f32_e32 v132, v132, v0
	v_add_f32_e32 v6, v7, v6
	v_fma_f32 v7, 0x3df6dbef, v37, -v89
	v_dual_add_f32 v8, v8, v1 :: v_dual_add_f32 v15, v126, v15
	v_add_f32_e32 v132, v134, v132
	v_fma_f32 v134, 0xbf788fa5, v28, -v57
	v_dual_fmamk_f32 v129, v33, 0xbf3f9e67, v63 :: v_dual_add_f32 v22, v38, v0
	v_dual_add_f32 v5, v49, v5 :: v_dual_fmac_f32 v130, 0xbeb58ec6, v28
	s_delay_alu instid0(VALU_DEP_3) | instskip(SKIP_1) | instid1(VALU_DEP_4)
	v_add_f32_e32 v70, v134, v132
	v_fma_f32 v132, 0xbf3f9e67, v32, -v58
	v_dual_add_f32 v60, v129, v60 :: v_dual_fmamk_f32 v129, v35, 0x3df6dbef, v64
	s_delay_alu instid0(VALU_DEP_4) | instskip(NEXT) | instid1(VALU_DEP_3)
	v_dual_fmac_f32 v88, 0xbf3f9e67, v28 :: v_dual_add_f32 v15, v130, v15
	v_add_f32_e32 v70, v132, v70
	v_dual_add_f32 v12, v18, v22 :: v_dual_fmac_f32 v101, 0x3f116cb1, v28
	v_mul_f32_e32 v133, 0xbf29c268, v55
	v_fmac_f32_e32 v114, 0x3f62ad3f, v28
	s_delay_alu instid0(VALU_DEP_4)
	v_add_f32_e32 v20, v73, v70
	v_fmac_f32_e32 v112, 0x3df6dbef, v32
	v_add_f32_e32 v129, v129, v60
	v_fma_f32 v135, 0xbf3f9e67, v36, -v133
	v_fmac_f32_e32 v120, 0xbf788fa5, v34
	v_add_f32_e32 v52, v23, v20
	v_fmac_f32_e32 v56, 0xbeb58ec6, v27
	v_fmac_f32_e32 v58, 0xbf3f9e67, v32
	v_add_f32_e32 v60, v135, v53
	v_dual_add_f32 v53, v136, v129 :: v_dual_add_f32 v12, v13, v12
	v_fmac_f32_e32 v93, 0xbeb58ec6, v34
	v_sub_f32_e32 v13, v77, v41
	v_dual_add_f32 v7, v7, v6 :: v_dual_add_f32 v6, v86, v9
	v_fmac_f32_e32 v57, 0xbf788fa5, v28
	v_fma_f32 v9, 0x3f116cb1, v31, -v94
	s_delay_alu instid0(VALU_DEP_4) | instskip(SKIP_2) | instid1(VALU_DEP_3)
	v_dual_add_f32 v12, v13, v12 :: v_dual_sub_f32 v13, v80, v42
	v_dual_add_f32 v16, v17, v16 :: v_dual_add_f32 v17, v54, v87
	v_dual_add_f32 v6, v88, v6 :: v_dual_fmac_f32 v127, 0x3f62ad3f, v32
	v_add_f32_e32 v10, v13, v12
	v_fma_f32 v13, 0x3df6dbef, v29, -v116
	s_delay_alu instid0(VALU_DEP_4) | instskip(SKIP_2) | instid1(VALU_DEP_4)
	v_add_f32_e32 v3, v17, v16
	v_fma_f32 v16, 0x3f62ad3f, v37, -v65
	v_dual_add_f32 v12, v110, v0 :: v_dual_fmac_f32 v111, 0x3f116cb1, v26
	v_dual_add_f32 v13, v13, v1 :: v_dual_add_f32 v4, v48, v4
	v_fmac_f32_e32 v123, 0x3f116cb1, v36
	s_delay_alu instid0(VALU_DEP_3) | instskip(NEXT) | instid1(VALU_DEP_3)
	v_dual_add_f32 v12, v113, v12 :: v_dual_add_f32 v15, v127, v15
	v_add_f32_e32 v13, v14, v13
	v_fma_f32 v14, 0xbeb58ec6, v31, -v122
	s_delay_alu instid0(VALU_DEP_3) | instskip(SKIP_2) | instid1(VALU_DEP_4)
	v_dual_fmac_f32 v125, 0x3f116cb1, v34 :: v_dual_add_f32 v12, v114, v12
	v_add_f32_e32 v6, v91, v6
	v_fmac_f32_e32 v59, 0x3df6dbef, v34
	v_add_f32_e32 v13, v14, v13
	s_delay_alu instid0(VALU_DEP_4) | instskip(SKIP_2) | instid1(VALU_DEP_2)
	v_add_f32_e32 v15, v125, v15
	v_fma_f32 v14, 0x3f62ad3f, v33, -v118
	v_fmac_f32_e32 v133, 0xbf3f9e67, v36
	v_dual_add_f32 v12, v112, v12 :: v_dual_add_f32 v13, v14, v13
	v_add_f32_e32 v2, v11, v10
	v_fma_f32 v10, 0x3df6dbef, v30, -v92
	v_fma_f32 v11, 0xbeb58ec6, v29, -v102
	s_delay_alu instid0(VALU_DEP_4) | instskip(SKIP_1) | instid1(VALU_DEP_4)
	v_add_f32_e32 v12, v120, v12
	v_fma_f32 v14, 0x3f116cb1, v35, -v124
	v_add_f32_e32 v8, v10, v8
	v_add_f32_e32 v10, v97, v0
	;; [unrolled: 1-line block ×3, first 2 shown]
	s_delay_alu instid0(VALU_DEP_3) | instskip(SKIP_1) | instid1(VALU_DEP_4)
	v_add_f32_e32 v8, v9, v8
	v_fma_f32 v9, 0xbf788fa5, v33, -v96
	v_add_f32_e32 v10, v99, v10
	s_delay_alu instid0(VALU_DEP_4) | instskip(NEXT) | instid1(VALU_DEP_3)
	v_add_f32_e32 v0, v56, v0
	v_add_f32_e32 v8, v9, v8
	v_fma_f32 v9, 0x3f62ad3f, v35, -v98
	s_delay_alu instid0(VALU_DEP_4) | instskip(NEXT) | instid1(VALU_DEP_4)
	v_add_f32_e32 v10, v101, v10
	v_add_f32_e32 v0, v57, v0
	s_delay_alu instid0(VALU_DEP_3) | instskip(SKIP_1) | instid1(VALU_DEP_4)
	v_add_f32_e32 v8, v9, v8
	v_fma_f32 v9, 0xbeb58ec6, v37, -v100
	v_add_f32_e32 v10, v103, v10
	s_delay_alu instid0(VALU_DEP_4) | instskip(SKIP_1) | instid1(VALU_DEP_3)
	v_add_f32_e32 v0, v58, v0
	v_add_f32_e32 v6, v93, v6
	v_dual_add_f32 v9, v9, v8 :: v_dual_add_f32 v8, v106, v10
	s_delay_alu instid0(VALU_DEP_3) | instskip(SKIP_4) | instid1(VALU_DEP_3)
	v_add_f32_e32 v17, v59, v0
	v_add_f32_e32 v10, v11, v1
	v_fma_f32 v11, 0xbf3f9e67, v30, -v105
	v_mul_u32_u24_e32 v0, 13, v84
	v_add_f32_e32 v8, v109, v8
	v_add_f32_e32 v10, v11, v10
	v_fma_f32 v11, 0x3f62ad3f, v31, -v108
	s_delay_alu instid0(VALU_DEP_4) | instskip(SKIP_1) | instid1(VALU_DEP_3)
	v_lshl_add_u32 v18, v0, 3, v201
	v_add_f32_e32 v0, v133, v15
	v_add_f32_e32 v10, v11, v10
	v_fma_f32 v11, 0x3df6dbef, v33, -v107
	s_delay_alu instid0(VALU_DEP_1) | instskip(SKIP_1) | instid1(VALU_DEP_1)
	v_add_f32_e32 v10, v11, v10
	v_fma_f32 v11, 0xbf788fa5, v35, -v104
	v_add_f32_e32 v10, v11, v10
	v_fma_f32 v11, 0x3f116cb1, v37, -v115
	s_delay_alu instid0(VALU_DEP_1) | instskip(SKIP_4) | instid1(VALU_DEP_2)
	v_add_f32_e32 v11, v11, v10
	v_add_f32_e32 v10, v123, v12
	;; [unrolled: 1-line block ×3, first 2 shown]
	v_fma_f32 v13, 0x3f116cb1, v29, -v117
	v_fma_f32 v14, 0xbf3f9e67, v37, -v128
	v_dual_add_f32 v6, v95, v6 :: v_dual_add_f32 v1, v13, v1
	v_fma_f32 v13, 0xbeb58ec6, v30, -v131
	s_delay_alu instid0(VALU_DEP_1) | instskip(SKIP_1) | instid1(VALU_DEP_1)
	v_add_f32_e32 v1, v13, v1
	v_fma_f32 v13, 0xbf788fa5, v31, -v62
	v_add_f32_e32 v1, v13, v1
	v_fma_f32 v13, 0xbf3f9e67, v33, -v63
	s_delay_alu instid0(VALU_DEP_1) | instskip(SKIP_1) | instid1(VALU_DEP_1)
	v_add_f32_e32 v1, v13, v1
	v_fma_f32 v13, 0x3df6dbef, v35, -v64
	v_add_f32_e32 v13, v13, v1
	v_dual_add_f32 v1, v14, v12 :: v_dual_add_f32 v12, v21, v17
	s_delay_alu instid0(VALU_DEP_2)
	v_add_f32_e32 v13, v16, v13
	ds_store_2addr_b64 v18, v[4:5], v[2:3] offset1:1
	ds_store_2addr_b64 v18, v[52:53], v[60:61] offset0:2 offset1:3
	ds_store_2addr_b64 v18, v[66:67], v[46:47] offset0:4 offset1:5
	;; [unrolled: 1-line block ×5, first 2 shown]
	ds_store_b64 v18, v[195:196] offset:96
.LBB0_7:
	s_or_b32 exec_lo, exec_lo, s2
	v_and_b32_e32 v0, 0xff, v200
	v_and_b32_e32 v1, 0xff, v84
	v_add_co_u32 v85, null, 0x82, v200
	s_waitcnt lgkmcnt(0)
	s_waitcnt_vscnt null, 0x0
	v_mul_lo_u16 v0, 0x4f, v0
	s_barrier
	buffer_gl0_inv
	v_add_co_u32 v86, null, 0xc3, v200
	v_lshrrev_b16 v58, 10, v0
	v_mul_lo_u16 v0, 0x4f, v1
	v_add_co_u32 v87, null, 0x104, v200
	s_delay_alu instid0(VALU_DEP_3) | instskip(NEXT) | instid1(VALU_DEP_3)
	v_mul_lo_u16 v1, v58, 13
	v_lshrrev_b16 v55, 10, v0
	v_and_b32_e32 v58, 0xffff, v58
	s_delay_alu instid0(VALU_DEP_3) | instskip(NEXT) | instid1(VALU_DEP_3)
	v_sub_nc_u16 v0, v200, v1
	v_mul_lo_u16 v1, v55, 13
	v_and_b32_e32 v55, 0xffff, v55
	s_delay_alu instid0(VALU_DEP_3) | instskip(NEXT) | instid1(VALU_DEP_3)
	v_and_b32_e32 v56, 0xff, v0
	v_sub_nc_u16 v0, v84, v1
	s_delay_alu instid0(VALU_DEP_3) | instskip(NEXT) | instid1(VALU_DEP_3)
	v_mul_u32_u24_e32 v55, 0x41, v55
	v_lshlrev_b32_e32 v1, 5, v56
	s_clause 0x1
	global_load_b128 v[16:19], v1, s[0:1]
	global_load_b128 v[4:7], v1, s[0:1] offset:16
	v_and_b32_e32 v52, 0xff, v85
	v_and_b32_e32 v57, 0xff, v0
	;; [unrolled: 1-line block ×3, first 2 shown]
	v_add_nc_u32_e32 v119, 0x800, v199
	v_add_nc_u32_e32 v117, 0x1800, v199
	v_mul_lo_u16 v0, 0x4f, v52
	v_lshlrev_b32_e32 v2, 5, v57
	v_mul_u32_u24_e32 v1, 0x4ec5, v54
	s_delay_alu instid0(VALU_DEP_3)
	v_lshrrev_b16 v60, 10, v0
	global_load_b128 v[24:27], v2, s[0:1]
	v_and_b32_e32 v53, 0xffff, v87
	v_lshrrev_b32_e32 v62, 18, v1
	global_load_b128 v[20:23], v2, s[0:1] offset:16
	v_mul_lo_u16 v0, v60, 13
	v_add_nc_u32_e32 v116, 0x1000, v199
	v_mul_u32_u24_e32 v1, 0x4ec5, v53
	v_add_nc_u32_e32 v118, 0x2800, v199
	s_delay_alu instid0(VALU_DEP_4) | instskip(NEXT) | instid1(VALU_DEP_3)
	v_sub_nc_u16 v0, v85, v0
	v_lshrrev_b32_e32 v59, 18, v1
	s_delay_alu instid0(VALU_DEP_2) | instskip(SKIP_1) | instid1(VALU_DEP_2)
	v_and_b32_e32 v63, 0xff, v0
	v_mul_lo_u16 v0, v62, 13
	v_lshlrev_b32_e32 v1, 5, v63
	s_delay_alu instid0(VALU_DEP_2)
	v_sub_nc_u16 v64, v86, v0
	v_mul_lo_u16 v0, v59, 13
	global_load_b128 v[32:35], v1, s[0:1] offset:16
	v_lshlrev_b16 v2, 2, v64
	v_sub_nc_u16 v61, v87, v0
	global_load_b128 v[36:39], v1, s[0:1]
	v_and_b32_e32 v0, 0xffff, v2
	s_delay_alu instid0(VALU_DEP_1) | instskip(SKIP_2) | instid1(VALU_DEP_1)
	v_lshlrev_b32_e32 v0, 3, v0
	global_load_b128 v[28:31], v0, s[0:1]
	v_lshlrev_b16 v1, 2, v61
	v_and_b32_e32 v1, 0xffff, v1
	s_delay_alu instid0(VALU_DEP_1)
	v_lshlrev_b32_e32 v1, 3, v1
	s_clause 0x2
	global_load_b128 v[12:15], v0, s[0:1] offset:16
	global_load_b128 v[8:11], v1, s[0:1]
	global_load_b128 v[0:3], v1, s[0:1] offset:16
	ds_load_2addr_b64 v[40:43], v119 offset0:4 offset1:69
	ds_load_2addr_b64 v[65:68], v116 offset0:138 offset1:203
	;; [unrolled: 1-line block ×4, first 2 shown]
	s_waitcnt vmcnt(9) lgkmcnt(2)
	v_mul_f32_e32 v110, v65, v19
	s_waitcnt vmcnt(8) lgkmcnt(0)
	v_mul_f32_e32 v114, v73, v7
	v_mul_f32_e32 v112, v71, v5
	;; [unrolled: 1-line block ×4, first 2 shown]
	v_fmac_f32_e32 v110, v66, v18
	s_delay_alu instid0(VALU_DEP_4)
	v_dual_mul_f32 v109, v66, v19 :: v_dual_fmac_f32 v112, v72, v4
	v_mul_f32_e32 v111, v72, v5
	v_mul_f32_e32 v113, v74, v7
	v_fmac_f32_e32 v114, v74, v6
	v_fma_f32 v83, v42, v16, -v83
	s_waitcnt vmcnt(7)
	v_dual_fmac_f32 v108, v43, v16 :: v_dual_mul_f32 v121, v68, v27
	v_mul_f32_e32 v122, v67, v27
	v_fma_f32 v109, v65, v18, -v109
	s_waitcnt vmcnt(6)
	v_mul_f32_e32 v126, v76, v23
	v_mul_f32_e32 v127, v75, v23
	v_add_nc_u32_e32 v124, 0x2000, v199
	v_fma_f32 v71, v71, v4, -v111
	v_fma_f32 v111, v73, v6, -v113
	;; [unrolled: 1-line block ×3, first 2 shown]
	v_fmac_f32_e32 v127, v76, v22
	ds_load_2addr_b64 v[77:80], v119 offset0:134 offset1:199
	ds_load_2addr_b64 v[88:91], v124 offset0:16 offset1:81
	ds_load_2addr_b64 v[48:51], v199 offset1:65
	ds_load_2addr_b64 v[44:47], v199 offset0:130 offset1:195
	ds_load_b64 v[81:82], v199 offset:12480
	ds_load_2addr_b64 v[92:95], v117 offset0:12 offset1:77
	ds_load_2addr_b64 v[96:99], v118 offset0:150 offset1:215
	;; [unrolled: 1-line block ×4, first 2 shown]
	v_dual_fmac_f32 v122, v68, v26 :: v_dual_add_f32 v129, v109, v71
	v_sub_f32_e32 v130, v108, v114
	v_dual_sub_f32 v132, v83, v109 :: v_dual_sub_f32 v135, v109, v83
	v_dual_sub_f32 v133, v111, v71 :: v_dual_add_f32 v138, v110, v112
	v_add_f32_e32 v134, v83, v111
	v_dual_sub_f32 v136, v71, v111 :: v_dual_sub_f32 v141, v114, v112
	v_dual_sub_f32 v139, v109, v71 :: v_dual_add_f32 v142, v108, v114
	s_waitcnt lgkmcnt(8)
	v_mul_f32_e32 v115, v78, v25
	v_mul_f32_e32 v120, v77, v25
	s_waitcnt lgkmcnt(7)
	v_mul_f32_e32 v123, v89, v21
	v_mul_f32_e32 v125, v88, v21
	s_waitcnt vmcnt(4)
	v_mul_f32_e32 v74, v79, v37
	v_fma_f32 v72, v77, v24, -v115
	s_waitcnt lgkmcnt(3)
	v_dual_fmac_f32 v120, v78, v24 :: v_dual_mul_f32 v43, v93, v39
	v_fma_f32 v77, v88, v20, -v123
	v_fmac_f32_e32 v125, v89, v20
	v_fma_f32 v88, v75, v22, -v126
	v_mul_f32_e32 v89, v92, v39
	v_mul_f32_e32 v42, v80, v37
	;; [unrolled: 1-line block ×3, first 2 shown]
	s_waitcnt lgkmcnt(2)
	v_dual_mul_f32 v113, v90, v33 :: v_dual_mul_f32 v66, v97, v35
	v_mul_f32_e32 v115, v96, v35
	v_fmac_f32_e32 v89, v93, v38
	v_fma_f32 v75, v79, v36, -v42
	v_fma_f32 v79, v92, v38, -v43
	;; [unrolled: 1-line block ×3, first 2 shown]
	v_fmac_f32_e32 v113, v91, v32
	v_fma_f32 v121, v96, v34, -v66
	s_waitcnt vmcnt(3) lgkmcnt(1)
	v_dual_mul_f32 v96, v94, v31 :: v_dual_mul_f32 v67, v101, v29
	v_dual_mul_f32 v68, v95, v31 :: v_dual_mul_f32 v91, v100, v29
	v_dual_add_f32 v128, v48, v83 :: v_dual_sub_f32 v131, v110, v112
	v_add_f32_e32 v137, v49, v108
	s_waitcnt vmcnt(2) lgkmcnt(0)
	v_mul_f32_e32 v76, v105, v13
	v_dual_fmac_f32 v74, v80, v36 :: v_dual_fmac_f32 v115, v97, v34
	s_waitcnt vmcnt(1)
	v_dual_mul_f32 v97, v104, v13 :: v_dual_mul_f32 v92, v70, v11
	v_mul_f32_e32 v78, v99, v15
	v_dual_mul_f32 v123, v98, v15 :: v_dual_mul_f32 v80, v103, v9
	v_dual_mul_f32 v42, v102, v9 :: v_dual_mul_f32 v43, v69, v11
	s_waitcnt vmcnt(0)
	v_dual_mul_f32 v93, v107, v1 :: v_dual_mul_f32 v126, v82, v3
	v_dual_mul_f32 v65, v106, v1 :: v_dual_mul_f32 v66, v81, v3
	v_dual_sub_f32 v83, v83, v111 :: v_dual_sub_f32 v140, v108, v110
	v_dual_sub_f32 v108, v110, v108 :: v_dual_sub_f32 v143, v112, v114
	v_dual_add_f32 v144, v50, v72 :: v_dual_add_f32 v145, v73, v77
	v_dual_sub_f32 v146, v120, v127 :: v_dual_sub_f32 v147, v122, v125
	v_dual_sub_f32 v148, v72, v73 :: v_dual_sub_f32 v151, v73, v72
	;; [unrolled: 1-line block ×3, first 2 shown]
	v_dual_add_f32 v150, v72, v88 :: v_dual_sub_f32 v157, v127, v125
	v_dual_add_f32 v153, v51, v120 :: v_dual_add_f32 v154, v122, v125
	v_dual_sub_f32 v155, v72, v88 :: v_dual_sub_f32 v156, v73, v77
	v_dual_sub_f32 v72, v120, v122 :: v_dual_sub_f32 v159, v125, v127
	v_dual_add_f32 v158, v120, v127 :: v_dual_fmac_f32 v91, v101, v28
	v_dual_sub_f32 v120, v122, v120 :: v_dual_fmac_f32 v123, v99, v14
	v_fma_f32 v100, v100, v28, -v67
	v_fma_f32 v94, v94, v30, -v68
	v_dual_fmac_f32 v96, v95, v30 :: v_dual_fmac_f32 v97, v105, v12
	v_fma_f32 v101, v104, v12, -v76
	v_fma_f32 v105, v98, v14, -v78
	;; [unrolled: 1-line block ×3, first 2 shown]
	v_dual_fmac_f32 v42, v103, v8 :: v_dual_fmac_f32 v43, v70, v10
	v_fma_f32 v194, v69, v10, -v92
	v_fma_f32 v197, v106, v0, -v93
	v_dual_fmac_f32 v65, v107, v0 :: v_dual_fmac_f32 v66, v82, v2
	v_dual_add_f32 v76, v128, v109 :: v_dual_add_f32 v99, v135, v136
	v_fma_f32 v67, -0.5, v129, v48
	v_add_f32_e32 v98, v132, v133
	v_fma_f32 v48, -0.5, v134, v48
	v_dual_add_f32 v78, v137, v110 :: v_dual_add_f32 v103, v108, v143
	v_fma_f32 v68, -0.5, v138, v49
	v_fma_f32 v49, -0.5, v142, v49
	v_dual_add_f32 v80, v144, v73 :: v_dual_sub_f32 v109, v74, v115
	v_dual_add_f32 v104, v148, v149 :: v_dual_sub_f32 v93, v75, v79
	v_fma_f32 v70, -0.5, v154, v51
	v_dual_add_f32 v108, v120, v159 :: v_dual_sub_f32 v95, v121, v90
	v_dual_add_f32 v82, v44, v75 :: v_dual_add_f32 v129, v45, v74
	v_dual_add_f32 v92, v79, v90 :: v_dual_sub_f32 v135, v74, v89
	v_dual_sub_f32 v110, v89, v113 :: v_dual_add_f32 v137, v74, v115
	v_add_f32_e32 v120, v75, v121
	v_dual_add_f32 v132, v89, v113 :: v_dual_fmamk_f32 v73, v131, 0xbf737871, v48
	v_fma_f32 v126, v81, v2, -v126
	v_dual_add_f32 v102, v140, v141 :: v_dual_fmac_f32 v51, -0.5, v158
	v_fma_f32 v69, -0.5, v145, v50
	v_fma_f32 v50, -0.5, v150, v50
	v_dual_add_f32 v106, v151, v152 :: v_dual_add_f32 v107, v72, v157
	v_dual_add_f32 v81, v153, v122 :: v_dual_sub_f32 v122, v79, v75
	v_sub_f32_e32 v128, v90, v121
	v_dual_sub_f32 v133, v75, v121 :: v_dual_sub_f32 v138, v89, v74
	v_sub_f32_e32 v134, v79, v90
	v_dual_sub_f32 v136, v115, v113 :: v_dual_fmamk_f32 v75, v146, 0x3f737871, v69
	v_dual_sub_f32 v140, v113, v115 :: v_dual_fmac_f32 v69, 0xbf737871, v146
	v_add_f32_e32 v141, v76, v71
	v_fmamk_f32 v71, v130, 0x3f737871, v67
	v_fmac_f32_e32 v67, 0xbf737871, v130
	v_dual_fmac_f32 v48, 0x3f737871, v131 :: v_dual_add_f32 v125, v81, v125
	v_add_f32_e32 v112, v78, v112
	v_fmamk_f32 v72, v83, 0xbf737871, v68
	v_fmac_f32_e32 v68, 0x3f737871, v83
	v_dual_fmamk_f32 v74, v139, 0x3f737871, v49 :: v_dual_add_f32 v143, v82, v79
	v_dual_fmac_f32 v49, 0xbf737871, v139 :: v_dual_add_f32 v142, v80, v77
	v_fmamk_f32 v76, v155, 0xbf737871, v70
	v_fma_f32 v79, -0.5, v92, v44
	v_dual_add_f32 v144, v93, v95 :: v_dual_add_f32 v149, v96, v97
	v_fma_f32 v44, -0.5, v120, v44
	v_add_f32_e32 v93, v129, v89
	v_fma_f32 v80, -0.5, v132, v45
	v_fma_f32 v45, -0.5, v137, v45
	v_add_f32_e32 v95, v46, v100
	v_fmamk_f32 v77, v147, 0xbf737871, v50
	v_dual_fmac_f32 v50, 0x3f737871, v147 :: v_dual_add_f32 v129, v94, v101
	v_dual_fmac_f32 v70, 0x3f737871, v155 :: v_dual_sub_f32 v137, v105, v101
	v_dual_fmamk_f32 v78, v156, 0x3f737871, v51 :: v_dual_sub_f32 v145, v101, v105
	v_fmac_f32_e32 v51, 0xbf737871, v156
	v_dual_add_f32 v120, v122, v128 :: v_dual_add_f32 v153, v91, v123
	v_dual_add_f32 v122, v135, v136 :: v_dual_sub_f32 v151, v94, v101
	v_dual_add_f32 v128, v138, v140 :: v_dual_sub_f32 v157, v97, v123
	v_dual_sub_f32 v132, v91, v123 :: v_dual_add_f32 v159, v194, v197
	v_sub_f32_e32 v135, v96, v97
	v_dual_sub_f32 v136, v100, v94 :: v_dual_sub_f32 v203, v43, v65
	v_dual_add_f32 v138, v100, v105 :: v_dual_add_f32 v81, v141, v111
	v_dual_sub_f32 v140, v94, v100 :: v_dual_fmac_f32 v71, 0x3f167918, v131
	v_dual_add_f32 v148, v47, v91 :: v_dual_sub_f32 v205, v126, v197
	v_dual_sub_f32 v150, v100, v105 :: v_dual_fmac_f32 v67, 0xbf167918, v131
	v_dual_sub_f32 v100, v91, v96 :: v_dual_fmac_f32 v73, 0x3f167918, v130
	;; [unrolled: 1-line block ×3, first 2 shown]
	v_dual_fmac_f32 v48, 0xbf167918, v130 :: v_dual_add_f32 v89, v125, v127
	v_dual_add_f32 v82, v112, v114 :: v_dual_add_f32 v111, v93, v113
	v_fmac_f32_e32 v72, 0xbf167918, v139
	v_dual_fmac_f32 v74, 0xbf167918, v83 :: v_dual_add_f32 v125, v148, v96
	v_dual_fmac_f32 v76, 0xbf167918, v156 :: v_dual_add_f32 v83, v143, v90
	v_fmamk_f32 v90, v109, 0x3f737871, v79
	v_fmamk_f32 v92, v110, 0xbf737871, v44
	v_dual_fmac_f32 v44, 0x3f737871, v110 :: v_dual_fmamk_f32 v93, v134, 0x3f737871, v45
	v_fmac_f32_e32 v45, 0xbf737871, v134
	v_dual_add_f32 v112, v95, v94 :: v_dual_fmac_f32 v73, 0x3e9e377a, v99
	v_dual_sub_f32 v154, v96, v91 :: v_dual_fmac_f32 v77, 0x3f167918, v146
	v_dual_add_f32 v158, v40, v193 :: v_dual_fmac_f32 v75, 0x3f167918, v147
	v_dual_sub_f32 v198, v42, v66 :: v_dual_fmac_f32 v69, 0xbf167918, v147
	v_dual_add_f32 v206, v193, v126 :: v_dual_fmac_f32 v79, 0xbf737871, v109
	v_dual_fmac_f32 v68, 0x3f167918, v139 :: v_dual_add_f32 v113, v136, v137
	v_dual_fmac_f32 v50, 0xbf167918, v146 :: v_dual_add_f32 v127, v100, v152
	v_fmac_f32_e32 v70, 0x3f167918, v156
	v_fma_f32 v94, -0.5, v129, v46
	v_add_f32_e32 v129, v154, v157
	v_fma_f32 v46, -0.5, v138, v46
	v_dual_add_f32 v114, v140, v145 :: v_dual_fmac_f32 v71, 0x3e9e377a, v98
	v_fma_f32 v95, -0.5, v149, v47
	v_fmac_f32_e32 v47, -0.5, v153
	v_fma_f32 v96, -0.5, v159, v40
	v_dual_fmac_f32 v67, 0x3e9e377a, v98 :: v_dual_fmac_f32 v48, 0x3e9e377a, v99
	v_fmac_f32_e32 v76, 0x3e9e377a, v107
	v_dual_add_f32 v98, v83, v121 :: v_dual_fmac_f32 v79, 0xbf167918, v110
	v_dual_add_f32 v99, v111, v115 :: v_dual_fmac_f32 v90, 0x3f167918, v110
	v_fmac_f32_e32 v45, 0x3f167918, v133
	v_dual_add_f32 v83, v112, v101 :: v_dual_sub_f32 v204, v193, v194
	v_fmac_f32_e32 v51, 0x3f167918, v155
	v_dual_fmac_f32 v72, 0x3e9e377a, v102 :: v_dual_fmac_f32 v75, 0x3e9e377a, v104
	v_dual_fmac_f32 v68, 0x3e9e377a, v102 :: v_dual_fmac_f32 v69, 0x3e9e377a, v104
	;; [unrolled: 1-line block ×3, first 2 shown]
	s_delay_alu instid0(VALU_DEP_4)
	v_dual_fmac_f32 v50, 0x3e9e377a, v106 :: v_dual_fmac_f32 v51, 0x3e9e377a, v108
	v_dual_fmac_f32 v70, 0x3e9e377a, v107 :: v_dual_add_f32 v97, v125, v97
	v_fmamk_f32 v100, v132, 0x3f737871, v94
	v_dual_fmac_f32 v94, 0xbf737871, v132 :: v_dual_fmamk_f32 v101, v150, 0xbf737871, v95
	v_fmamk_f32 v102, v135, 0xbf737871, v46
	v_fmac_f32_e32 v46, 0x3f737871, v135
	v_fmamk_f32 v104, v198, 0x3f737871, v96
	v_dual_fmac_f32 v45, 0x3e9e377a, v128 :: v_dual_add_f32 v106, v83, v105
	v_dual_add_f32 v83, v43, v65 :: v_dual_add_f32 v88, v142, v88
	v_fmamk_f32 v91, v133, 0xbf737871, v80
	v_dual_fmac_f32 v78, 0xbf167918, v155 :: v_dual_add_f32 v131, v204, v205
	v_dual_add_f32 v130, v158, v194 :: v_dual_fmac_f32 v49, 0x3e9e377a, v103
	v_fma_f32 v40, -0.5, v206, v40
	v_dual_fmac_f32 v92, 0x3f167918, v109 :: v_dual_add_f32 v107, v97, v123
	v_dual_fmac_f32 v44, 0xbf167918, v109 :: v_dual_fmac_f32 v91, 0xbf167918, v134
	v_dual_fmac_f32 v93, 0xbf167918, v133 :: v_dual_fmac_f32 v94, 0xbf167918, v135
	v_fmamk_f32 v103, v151, 0x3f737871, v47
	v_dual_fmac_f32 v47, 0xbf737871, v151 :: v_dual_fmac_f32 v96, 0xbf737871, v198
	v_dual_sub_f32 v105, v194, v193 :: v_dual_fmac_f32 v100, 0x3f167918, v135
	v_dual_fmac_f32 v102, 0x3f167918, v132 :: v_dual_add_f32 v111, v41, v42
	v_dual_fmac_f32 v46, 0xbf167918, v132 :: v_dual_fmac_f32 v101, 0xbf167918, v151
	v_dual_sub_f32 v109, v197, v126 :: v_dual_fmac_f32 v104, 0x3f167918, v203
	v_fma_f32 v97, -0.5, v83, v41
	v_sub_f32_e32 v83, v193, v126
	v_dual_fmac_f32 v103, 0xbf167918, v150 :: v_dual_fmac_f32 v96, 0xbf167918, v203
	v_fmac_f32_e32 v47, 0x3f167918, v150
	v_dual_fmac_f32 v100, 0x3e9e377a, v113 :: v_dual_add_f32 v111, v111, v43
	v_dual_fmac_f32 v94, 0x3e9e377a, v113 :: v_dual_sub_f32 v113, v42, v43
	v_dual_fmac_f32 v102, 0x3e9e377a, v114 :: v_dual_add_f32 v109, v105, v109
	s_delay_alu instid0(VALU_DEP_3)
	v_dual_fmac_f32 v46, 0x3e9e377a, v114 :: v_dual_add_f32 v111, v111, v65
	v_dual_fmac_f32 v104, 0x3e9e377a, v131 :: v_dual_add_f32 v115, v42, v66
	v_fmamk_f32 v110, v203, 0xbf737871, v40
	v_dual_fmamk_f32 v105, v83, 0xbf737871, v97 :: v_dual_sub_f32 v112, v194, v197
	v_sub_f32_e32 v114, v66, v65
	v_fmac_f32_e32 v40, 0x3f737871, v203
	v_fmac_f32_e32 v41, -0.5, v115
	v_fmac_f32_e32 v97, 0x3f737871, v83
	v_fmac_f32_e32 v110, 0x3f167918, v198
	;; [unrolled: 1-line block ×3, first 2 shown]
	v_dual_fmac_f32 v96, 0x3e9e377a, v131 :: v_dual_add_f32 v113, v113, v114
	v_fmac_f32_e32 v40, 0xbf167918, v198
	v_sub_f32_e32 v42, v43, v42
	v_sub_f32_e32 v43, v65, v66
	v_fmac_f32_e32 v97, 0x3f167918, v112
	v_fmac_f32_e32 v110, 0x3e9e377a, v109
	;; [unrolled: 1-line block ×3, first 2 shown]
	v_dual_fmac_f32 v80, 0x3f737871, v133 :: v_dual_fmac_f32 v95, 0x3f737871, v150
	s_delay_alu instid0(VALU_DEP_4)
	v_dual_add_f32 v42, v42, v43 :: v_dual_fmac_f32 v97, 0x3e9e377a, v113
	v_dual_fmac_f32 v40, 0x3e9e377a, v109 :: v_dual_add_f32 v109, v111, v66
	v_fmamk_f32 v111, v112, 0x3f737871, v41
	v_fmac_f32_e32 v41, 0xbf737871, v112
	v_mul_u32_u24_e32 v43, 0x41, v58
	scratch_store_b128 off, v[0:3], off offset:32 ; 16-byte Folded Spill
	s_waitcnt_vscnt null, 0x0
	v_fmac_f32_e32 v111, 0xbf167918, v83
	v_fmac_f32_e32 v41, 0x3f167918, v83
	v_add_nc_u32_e32 v43, v43, v56
	s_barrier
	buffer_gl0_inv
	v_fmac_f32_e32 v111, 0x3e9e377a, v42
	v_fmac_f32_e32 v41, 0x3e9e377a, v42
	v_and_b32_e32 v42, 0xffff, v60
	v_lshl_add_u32 v56, v43, 3, v201
	v_dual_fmac_f32 v80, 0x3f167918, v134 :: v_dual_add_nc_u32 v43, v55, v57
	v_fmac_f32_e32 v95, 0x3f167918, v151
	s_delay_alu instid0(VALU_DEP_4)
	v_mul_u32_u24_e32 v42, 0x41, v42
	ds_store_2addr_b64 v56, v[73:74], v[48:49] offset0:26 offset1:39
	v_lshl_add_u32 v55, v43, 3, v201
	v_mad_u16 v43, 0x41, v62, v64
	v_mad_u16 v48, 0x41, v59, v61
	v_add_nc_u32_e32 v42, v42, v63
	v_dual_fmac_f32 v78, 0x3e9e377a, v108 :: v_dual_fmac_f32 v91, 0x3e9e377a, v122
	v_dual_fmac_f32 v90, 0x3e9e377a, v144 :: v_dual_fmac_f32 v101, 0x3e9e377a, v127
	v_and_b32_e32 v43, 0xffff, v43
	s_delay_alu instid0(VALU_DEP_4)
	v_lshl_add_u32 v49, v42, 3, v201
	v_and_b32_e32 v42, 0xffff, v48
	v_dual_add_f32 v108, v130, v197 :: v_dual_fmac_f32 v79, 0x3e9e377a, v144
	v_dual_fmac_f32 v92, 0x3e9e377a, v120 :: v_dual_fmac_f32 v95, 0x3e9e377a, v127
	v_dual_fmac_f32 v44, 0x3e9e377a, v120 :: v_dual_fmac_f32 v103, 0x3e9e377a, v129
	;; [unrolled: 1-line block ×3, first 2 shown]
	ds_store_2addr_b64 v56, v[81:82], v[71:72] offset1:13
	scratch_store_b32 off, v56, off offset:12 ; 4-byte Folded Spill
	ds_store_b64 v56, v[67:68] offset:416
	ds_store_2addr_b64 v55, v[88:89], v[75:76] offset1:13
	ds_store_2addr_b64 v55, v[77:78], v[50:51] offset0:26 offset1:39
	scratch_store_b32 off, v55, off offset:8 ; 4-byte Folded Spill
	ds_store_b64 v55, v[69:70] offset:416
	v_lshl_add_u32 v43, v43, 3, v201
	ds_store_2addr_b64 v49, v[98:99], v[90:91] offset1:13
	ds_store_2addr_b64 v49, v[92:93], v[44:45] offset0:26 offset1:39
	v_lshl_add_u32 v44, v42, 3, v201
	v_mul_lo_u16 v42, 0xfd, v52
	v_dual_add_f32 v108, v108, v126 :: v_dual_fmac_f32 v47, 0x3e9e377a, v129
	scratch_store_b32 off, v49, off offset:24 ; 4-byte Folded Spill
	ds_store_b64 v49, v[79:80] offset:416
	ds_store_2addr_b64 v43, v[106:107], v[100:101] offset1:13
	ds_store_2addr_b64 v43, v[102:103], v[46:47] offset0:26 offset1:39
	scratch_store_b32 off, v43, off offset:20 ; 4-byte Folded Spill
	ds_store_b64 v43, v[94:95] offset:416
	ds_store_2addr_b64 v44, v[108:109], v[104:105] offset1:13
	ds_store_2addr_b64 v44, v[110:111], v[40:41] offset0:26 offset1:39
	v_lshrrev_b16 v40, 14, v42
	v_mul_u32_u24_e32 v43, 0xfc1, v54
	v_mul_u32_u24_e32 v42, 0xfc1, v53
	v_lshlrev_b32_e32 v88, 5, v200
	scratch_store_b32 off, v44, off offset:16 ; 4-byte Folded Spill
	v_mul_lo_u16 v40, 0x41, v40
	v_lshrrev_b32_e32 v41, 18, v43
	v_lshrrev_b32_e32 v42, 18, v42
	ds_store_b64 v44, v[96:97] offset:416
	s_waitcnt lgkmcnt(0)
	s_waitcnt_vscnt null, 0x0
	v_sub_nc_u16 v40, v85, v40
	v_mul_lo_u16 v41, 0x41, v41
	s_barrier
	buffer_gl0_inv
	s_clause 0x1
	global_load_b128 v[72:75], v88, s[0:1] offset:416
	global_load_b128 v[68:71], v88, s[0:1] offset:432
	v_and_b32_e32 v89, 0xff, v40
	v_mul_lo_u16 v40, 0x41, v42
	v_sub_nc_u16 v91, v86, v41
	s_delay_alu instid0(VALU_DEP_3) | instskip(NEXT) | instid1(VALU_DEP_3)
	v_lshlrev_b32_e32 v42, 5, v89
	v_sub_nc_u16 v90, v87, v40
	s_delay_alu instid0(VALU_DEP_3)
	v_lshlrev_b16 v41, 5, v91
	s_clause 0x1
	global_load_b128 v[60:63], v42, s[0:1] offset:416
	global_load_b128 v[56:59], v42, s[0:1] offset:432
	v_lshlrev_b16 v43, 5, v90
	v_and_b32_e32 v40, 0xffff, v41
	s_delay_alu instid0(VALU_DEP_2) | instskip(NEXT) | instid1(VALU_DEP_2)
	v_and_b32_e32 v42, 0xffff, v43
	v_add_co_u32 v40, s2, s0, v40
	s_delay_alu instid0(VALU_DEP_1) | instskip(NEXT) | instid1(VALU_DEP_3)
	v_add_co_ci_u32_e64 v41, null, s1, 0, s2
	v_add_co_u32 v42, s2, s0, v42
	s_delay_alu instid0(VALU_DEP_1)
	v_add_co_ci_u32_e64 v43, null, s1, 0, s2
	s_clause 0x3
	global_load_b128 v[52:55], v[40:41], off offset:416
	global_load_b128 v[44:47], v[40:41], off offset:432
	;; [unrolled: 1-line block ×4, first 2 shown]
	ds_load_2addr_b64 v[64:67], v119 offset0:4 offset1:69
	ds_load_2addr_b64 v[96:99], v116 offset0:138 offset1:203
	;; [unrolled: 1-line block ×6, first 2 shown]
	ds_load_2addr_b64 v[80:83], v199 offset1:65
	ds_load_2addr_b64 v[76:79], v199 offset0:130 offset1:195
	ds_load_2addr_b64 v[120:123], v117 offset0:12 offset1:77
	;; [unrolled: 1-line block ×5, first 2 shown]
	ds_load_b64 v[137:138], v199 offset:12480
	s_waitcnt vmcnt(0) lgkmcnt(0)
	s_barrier
	buffer_gl0_inv
	v_mul_f32_e32 v147, v109, v73
	v_mul_f32_e32 v139, v67, v73
	;; [unrolled: 1-line block ×3, first 2 shown]
	v_dual_mul_f32 v142, v96, v75 :: v_dual_mul_f32 v143, v103, v69
	v_dual_mul_f32 v144, v102, v69 :: v_dual_mul_f32 v145, v105, v71
	v_mul_f32_e32 v146, v104, v71
	v_mul_f32_e32 v149, v99, v75
	v_dual_mul_f32 v151, v113, v69 :: v_dual_mul_f32 v154, v106, v71
	v_dual_mul_f32 v153, v107, v71 :: v_dual_mul_f32 v140, v66, v73
	v_mul_f32_e32 v148, v108, v73
	v_mul_f32_e32 v150, v98, v75
	;; [unrolled: 1-line block ×3, first 2 shown]
	v_dual_mul_f32 v155, v111, v61 :: v_dual_mul_f32 v158, v120, v63
	v_dual_mul_f32 v156, v110, v61 :: v_dual_mul_f32 v157, v121, v63
	;; [unrolled: 1-line block ×3, first 2 shown]
	v_mul_f32_e32 v193, v114, v57
	v_mul_f32_e32 v197, v125, v59
	v_fma_f32 v139, v66, v72, -v139
	v_fma_f32 v141, v96, v74, -v141
	v_fmac_f32_e32 v142, v97, v74
	v_fma_f32 v143, v102, v68, -v143
	v_mul_f32_e32 v198, v130, v53
	v_mul_f32_e32 v92, v131, v49
	v_dual_mul_f32 v203, v129, v53 :: v_dual_mul_f32 v210, v122, v55
	v_dual_mul_f32 v209, v123, v55 :: v_dual_mul_f32 v218, v136, v41
	v_mul_f32_e32 v214, v128, v47
	v_mul_f32_e32 v215, v127, v47
	v_dual_mul_f32 v217, v101, v51 :: v_dual_fmac_f32 v144, v103, v68
	v_dual_mul_f32 v95, v135, v41 :: v_dual_fmac_f32 v146, v105, v70
	v_fma_f32 v145, v104, v70, -v145
	v_fma_f32 v97, v108, v72, -v147
	;; [unrolled: 1-line block ×5, first 2 shown]
	v_dual_mul_f32 v211, v134, v45 :: v_dual_mul_f32 v94, v100, v51
	v_dual_mul_f32 v213, v133, v45 :: v_dual_fmac_f32 v140, v67, v72
	v_dual_mul_f32 v216, v132, v49 :: v_dual_mul_f32 v219, v138, v43
	v_fmac_f32_e32 v148, v109, v72
	v_dual_mul_f32 v93, v137, v43 :: v_dual_fmac_f32 v150, v99, v74
	v_dual_fmac_f32 v152, v113, v68 :: v_dual_fmac_f32 v197, v126, v58
	v_dual_fmac_f32 v154, v107, v70 :: v_dual_fmac_f32 v203, v130, v52
	v_fma_f32 v98, v110, v60, -v155
	v_dual_fmac_f32 v156, v111, v60 :: v_dual_fmac_f32 v215, v128, v46
	v_fma_f32 v103, v120, v62, -v157
	v_dual_fmac_f32 v158, v121, v62 :: v_dual_fmac_f32 v193, v115, v56
	v_fma_f32 v111, v114, v56, -v159
	v_fma_f32 v115, v129, v52, -v198
	v_fma_f32 v130, v127, v46, -v214
	;; [unrolled: 1-line block ×4, first 2 shown]
	v_add_f32_e32 v99, v80, v139
	v_dual_add_f32 v100, v141, v143 :: v_dual_sub_f32 v121, v140, v146
	v_dual_add_f32 v105, v139, v145 :: v_dual_sub_f32 v106, v141, v139
	v_dual_sub_f32 v107, v143, v145 :: v_dual_add_f32 v110, v142, v144
	v_dual_sub_f32 v127, v144, v146 :: v_dual_add_f32 v128, v82, v97
	v_add_f32_e32 v129, v102, v108
	v_add_f32_e32 v135, v97, v147
	v_fma_f32 v114, v125, v58, -v194
	v_fma_f32 v149, v122, v54, -v209
	v_dual_fmac_f32 v210, v123, v54 :: v_dual_fmac_f32 v213, v134, v44
	v_fma_f32 v151, v133, v44, -v211
	v_fma_f32 v96, v131, v48, -v216
	v_dual_fmac_f32 v92, v132, v48 :: v_dual_fmac_f32 v93, v138, v42
	v_dual_fmac_f32 v94, v101, v50 :: v_dual_fmac_f32 v95, v136, v40
	v_fma_f32 v153, v137, v42, -v219
	v_dual_sub_f32 v122, v142, v144 :: v_dual_sub_f32 v101, v139, v141
	v_sub_f32_e32 v104, v145, v143
	v_dual_add_f32 v109, v81, v140 :: v_dual_sub_f32 v112, v140, v142
	v_dual_sub_f32 v123, v139, v145 :: v_dual_add_f32 v120, v140, v146
	v_dual_sub_f32 v125, v141, v143 :: v_dual_sub_f32 v126, v142, v140
	v_dual_sub_f32 v113, v146, v144 :: v_dual_sub_f32 v140, v97, v147
	;; [unrolled: 1-line block ×5, first 2 shown]
	v_add_f32_e32 v138, v83, v148
	v_dual_add_f32 v139, v150, v152 :: v_dual_sub_f32 v198, v152, v154
	v_add_f32_e32 v194, v148, v154
	v_dual_add_f32 v209, v76, v98 :: v_dual_sub_f32 v216, v158, v193
	v_dual_add_f32 v211, v103, v111 :: v_dual_add_f32 v222, v77, v156
	v_dual_sub_f32 v227, v197, v193 :: v_dual_add_f32 v230, v106, v107
	v_dual_add_f32 v141, v99, v141 :: v_dual_add_f32 v126, v126, v127
	v_fma_f32 v97, -0.5, v100, v80
	v_fma_f32 v80, -0.5, v105, v80
	v_add_f32_e32 v107, v128, v102
	v_fma_f32 v99, -0.5, v129, v82
	v_fma_f32 v82, -0.5, v135, v82
	v_dual_sub_f32 v155, v102, v108 :: v_dual_sub_f32 v214, v156, v197
	v_dual_sub_f32 v157, v148, v150 :: v_dual_sub_f32 v148, v150, v148
	;; [unrolled: 1-line block ×4, first 2 shown]
	v_dual_add_f32 v219, v98, v114 :: v_dual_add_f32 v228, v156, v197
	v_add_f32_e32 v223, v158, v193
	v_dual_sub_f32 v224, v98, v114 :: v_dual_sub_f32 v225, v103, v111
	v_add_f32_e32 v229, v101, v104
	v_add_f32_e32 v104, v109, v142
	;; [unrolled: 1-line block ×3, first 2 shown]
	v_fma_f32 v98, -0.5, v110, v81
	v_fma_f32 v81, -0.5, v120, v81
	v_dual_add_f32 v127, v133, v134 :: v_dual_add_f32 v128, v136, v137
	v_dual_add_f32 v110, v138, v150 :: v_dual_add_f32 v129, v157, v159
	v_fma_f32 v100, -0.5, v139, v83
	v_dual_fmac_f32 v83, -0.5, v194 :: v_dual_add_f32 v136, v141, v143
	v_add_f32_e32 v112, v209, v103
	v_fma_f32 v101, -0.5, v211, v76
	v_dual_add_f32 v120, v222, v158 :: v_dual_fmamk_f32 v103, v121, 0x3f737871, v97
	v_dual_fmac_f32 v97, 0xbf737871, v121 :: v_dual_add_f32 v138, v107, v108
	v_fmamk_f32 v105, v122, 0xbf737871, v80
	v_fmamk_f32 v109, v132, 0xbf737871, v82
	v_dual_fmac_f32 v82, 0x3f737871, v132 :: v_dual_add_f32 v141, v112, v111
	v_dual_sub_f32 v218, v114, v111 :: v_dual_sub_f32 v221, v111, v114
	v_add_f32_e32 v133, v148, v198
	v_fma_f32 v102, -0.5, v223, v77
	v_dual_fmac_f32 v80, 0x3f737871, v122 :: v_dual_add_f32 v137, v104, v144
	v_fmamk_f32 v104, v123, 0xbf737871, v98
	v_dual_fmac_f32 v98, 0x3f737871, v123 :: v_dual_fmamk_f32 v107, v131, 0x3f737871, v99
	v_dual_fmamk_f32 v106, v125, 0x3f737871, v81 :: v_dual_add_f32 v139, v110, v152
	v_dual_fmac_f32 v81, 0xbf737871, v125 :: v_dual_fmamk_f32 v108, v140, 0xbf737871, v100
	v_dual_fmac_f32 v99, 0xbf737871, v131 :: v_dual_fmamk_f32 v112, v224, 0xbf737871, v102
	;; [unrolled: 1-line block ×3, first 2 shown]
	v_dual_fmamk_f32 v110, v155, 0x3f737871, v83 :: v_dual_add_f32 v143, v120, v193
	v_dual_fmac_f32 v101, 0xbf737871, v214 :: v_dual_add_f32 v120, v136, v145
	v_dual_fmac_f32 v103, 0x3f167918, v122 :: v_dual_fmac_f32 v98, 0x3f167918, v125
	v_dual_fmac_f32 v97, 0xbf167918, v122 :: v_dual_fmac_f32 v80, 0xbf167918, v121
	;; [unrolled: 1-line block ×3, first 2 shown]
	v_add_f32_e32 v122, v138, v147
	v_fmac_f32_e32 v109, 0x3f167918, v131
	v_fmac_f32_e32 v82, 0xbf167918, v131
	v_dual_add_f32 v134, v217, v218 :: v_dual_add_f32 v135, v220, v221
	v_dual_fmac_f32 v104, 0xbf167918, v125 :: v_dual_fmac_f32 v99, 0xbf167918, v132
	v_fmac_f32_e32 v106, 0xbf167918, v123
	v_fmac_f32_e32 v107, 0x3f167918, v132
	v_dual_fmac_f32 v110, 0xbf167918, v140 :: v_dual_add_f32 v125, v141, v114
	v_fmac_f32_e32 v111, 0x3f167918, v216
	v_dual_fmac_f32 v105, 0x3e9e377a, v230 :: v_dual_fmac_f32 v82, 0x3e9e377a, v128
	v_dual_fmac_f32 v109, 0x3e9e377a, v128 :: v_dual_fmac_f32 v100, 0x3e9e377a, v129
	v_add_f32_e32 v128, v226, v227
	v_dual_fmac_f32 v108, 0xbf167918, v155 :: v_dual_fmac_f32 v101, 0xbf167918, v216
	v_fmac_f32_e32 v102, 0x3f737871, v224
	v_fmac_f32_e32 v81, 0x3f167918, v123
	v_fma_f32 v76, -0.5, v219, v76
	v_add_f32_e32 v123, v139, v154
	v_dual_fmac_f32 v106, 0x3e9e377a, v126 :: v_dual_fmac_f32 v99, 0x3e9e377a, v127
	v_dual_fmac_f32 v108, 0x3e9e377a, v129 :: v_dual_fmac_f32 v111, 0x3e9e377a, v134
	v_fmac_f32_e32 v112, 0xbf167918, v225
	v_fmac_f32_e32 v101, 0x3e9e377a, v134
	v_sub_f32_e32 v129, v193, v197
	v_fmac_f32_e32 v110, 0x3e9e377a, v133
	v_fmac_f32_e32 v102, 0x3f167918, v225
	v_dual_fmac_f32 v81, 0x3e9e377a, v126 :: v_dual_sub_f32 v134, v203, v215
	v_dual_fmac_f32 v98, 0x3e9e377a, v142 :: v_dual_fmac_f32 v107, 0x3e9e377a, v127
	v_sub_f32_e32 v127, v158, v156
	v_dual_fmac_f32 v83, 0xbf737871, v155 :: v_dual_add_f32 v126, v143, v197
	v_fmamk_f32 v113, v216, 0xbf737871, v76
	v_dual_fmac_f32 v76, 0x3f737871, v216 :: v_dual_add_f32 v121, v137, v146
	v_fma_f32 v77, -0.5, v228, v77
	v_dual_add_f32 v132, v127, v129 :: v_dual_add_f32 v129, v78, v115
	v_dual_fmac_f32 v83, 0x3f167918, v140 :: v_dual_add_f32 v136, v115, v130
	s_delay_alu instid0(VALU_DEP_4) | instskip(NEXT) | instid1(VALU_DEP_4)
	v_dual_fmac_f32 v76, 0xbf167918, v214 :: v_dual_add_f32 v131, v149, v151
	v_fmamk_f32 v114, v225, 0x3f737871, v77
	v_fmac_f32_e32 v112, 0x3e9e377a, v128
	v_fmac_f32_e32 v102, 0x3e9e377a, v128
	;; [unrolled: 1-line block ×3, first 2 shown]
	v_dual_add_f32 v128, v129, v149 :: v_dual_fmac_f32 v113, 0x3f167918, v214
	v_dual_fmac_f32 v83, 0x3e9e377a, v133 :: v_dual_fmac_f32 v76, 0x3e9e377a, v135
	v_fmac_f32_e32 v114, 0xbf167918, v224
	v_fma_f32 v127, -0.5, v131, v78
	v_sub_f32_e32 v131, v115, v149
	v_sub_f32_e32 v133, v130, v151
	v_dual_fmac_f32 v77, 0x3f167918, v224 :: v_dual_add_f32 v138, v210, v213
	v_add_f32_e32 v128, v128, v151
	v_fmac_f32_e32 v114, 0x3e9e377a, v132
	v_fmamk_f32 v129, v134, 0x3f737871, v127
	v_fma_f32 v78, -0.5, v136, v78
	v_add_f32_e32 v136, v79, v203
	v_add_f32_e32 v137, v131, v133
	v_fmac_f32_e32 v77, 0x3e9e377a, v132
	v_dual_add_f32 v131, v128, v130 :: v_dual_sub_f32 v128, v149, v115
	v_fmac_f32_e32 v113, 0x3e9e377a, v135
	v_dual_sub_f32 v135, v210, v213 :: v_dual_sub_f32 v132, v151, v130
	v_fmac_f32_e32 v127, 0xbf737871, v134
	v_sub_f32_e32 v115, v115, v130
	v_dual_add_f32 v139, v66, v67 :: v_dual_sub_f32 v140, v92, v93
	s_delay_alu instid0(VALU_DEP_4) | instskip(SKIP_4) | instid1(VALU_DEP_4)
	v_dual_fmac_f32 v129, 0x3f167918, v135 :: v_dual_add_f32 v132, v128, v132
	v_fma_f32 v128, -0.5, v138, v79
	v_fmamk_f32 v133, v135, 0xbf737871, v78
	v_fmac_f32_e32 v78, 0x3f737871, v135
	v_dual_fmac_f32 v127, 0xbf167918, v135 :: v_dual_sub_f32 v138, v215, v213
	v_dual_fmamk_f32 v130, v115, 0xbf737871, v128 :: v_dual_add_f32 v135, v136, v210
	s_delay_alu instid0(VALU_DEP_4) | instskip(NEXT) | instid1(VALU_DEP_4)
	v_dual_sub_f32 v136, v149, v151 :: v_dual_fmac_f32 v133, 0x3f167918, v134
	v_fmac_f32_e32 v78, 0xbf167918, v134
	v_fmac_f32_e32 v129, 0x3e9e377a, v137
	;; [unrolled: 1-line block ×3, first 2 shown]
	s_delay_alu instid0(VALU_DEP_4) | instskip(SKIP_2) | instid1(VALU_DEP_3)
	v_dual_sub_f32 v137, v203, v210 :: v_dual_fmac_f32 v130, 0xbf167918, v136
	v_add_f32_e32 v134, v135, v213
	v_dual_add_f32 v135, v203, v215 :: v_dual_fmac_f32 v78, 0x3e9e377a, v132
	v_add_f32_e32 v137, v137, v138
	v_dual_sub_f32 v138, v213, v215 :: v_dual_fmac_f32 v133, 0x3e9e377a, v132
	s_delay_alu instid0(VALU_DEP_3) | instskip(SKIP_3) | instid1(VALU_DEP_3)
	v_fmac_f32_e32 v79, -0.5, v135
	v_sub_f32_e32 v135, v210, v203
	v_dual_add_f32 v132, v134, v215 :: v_dual_fmac_f32 v97, 0x3e9e377a, v229
	v_dual_fmac_f32 v104, 0x3e9e377a, v142 :: v_dual_sub_f32 v141, v153, v67
	v_add_f32_e32 v138, v135, v138
	v_fmamk_f32 v134, v136, 0x3f737871, v79
	v_fmac_f32_e32 v128, 0x3f737871, v115
	v_fmac_f32_e32 v79, 0xbf737871, v136
	v_fma_f32 v135, -0.5, v139, v64
	s_delay_alu instid0(VALU_DEP_4) | instskip(NEXT) | instid1(VALU_DEP_4)
	v_dual_sub_f32 v139, v96, v66 :: v_dual_fmac_f32 v134, 0xbf167918, v115
	v_fmac_f32_e32 v128, 0x3f167918, v136
	v_add_f32_e32 v136, v64, v96
	v_fmac_f32_e32 v130, 0x3e9e377a, v137
	v_dual_fmac_f32 v79, 0x3f167918, v115 :: v_dual_add_f32 v142, v96, v153
	s_delay_alu instid0(VALU_DEP_3)
	v_dual_fmac_f32 v128, 0x3e9e377a, v137 :: v_dual_add_f32 v115, v136, v66
	v_fmac_f32_e32 v134, 0x3e9e377a, v138
	v_dual_fmamk_f32 v137, v140, 0x3f737871, v135 :: v_dual_sub_f32 v136, v94, v95
	v_fmac_f32_e32 v135, 0xbf737871, v140
	v_fma_f32 v64, -0.5, v142, v64
	v_add_f32_e32 v115, v115, v67
	v_dual_fmac_f32 v79, 0x3e9e377a, v138 :: v_dual_sub_f32 v138, v66, v96
	v_sub_f32_e32 v66, v66, v67
	v_sub_f32_e32 v142, v67, v153
	v_add_f32_e32 v141, v139, v141
	v_add_f32_e32 v143, v65, v92
	v_dual_fmac_f32 v137, 0x3f167918, v136 :: v_dual_sub_f32 v96, v96, v153
	v_fmac_f32_e32 v135, 0xbf167918, v136
	v_dual_fmac_f32 v103, 0x3e9e377a, v229 :: v_dual_fmac_f32 v80, 0x3e9e377a, v230
	s_delay_alu instid0(VALU_DEP_3) | instskip(SKIP_1) | instid1(VALU_DEP_4)
	v_fmac_f32_e32 v137, 0x3e9e377a, v141
	v_lshl_add_u32 v209, v89, 3, v201
	v_fmac_f32_e32 v135, 0x3e9e377a, v141
	v_fmamk_f32 v141, v136, 0xbf737871, v64
	v_dual_fmac_f32 v64, 0x3f737871, v136 :: v_dual_add_f32 v139, v115, v153
	v_add_f32_e32 v115, v94, v95
	ds_store_2addr_b64 v199, v[120:121], v[103:104] offset1:65
	ds_store_2addr_b64 v199, v[105:106], v[80:81] offset0:130 offset1:195
	v_fmac_f32_e32 v141, 0x3f167918, v140
	v_fmac_f32_e32 v64, 0xbf167918, v140
	ds_store_2addr_b64 v116, v[82:83], v[99:100] offset0:8 offset1:73
	v_fma_f32 v136, -0.5, v115, v65
	v_dual_add_f32 v115, v138, v142 :: v_dual_add_f32 v142, v92, v93
	ds_store_2addr_b64 v119, v[97:98], v[122:123] offset0:4 offset1:69
	ds_store_2addr_b64 v119, v[107:108], v[109:110] offset0:134 offset1:199
	v_fmamk_f32 v138, v96, 0xbf737871, v136
	v_dual_fmac_f32 v136, 0x3f737871, v96 :: v_dual_fmac_f32 v65, -0.5, v142
	v_fmac_f32_e32 v141, 0x3e9e377a, v115
	v_fmac_f32_e32 v64, 0x3e9e377a, v115
	s_delay_alu instid0(VALU_DEP_4) | instskip(NEXT) | instid1(VALU_DEP_4)
	v_fmac_f32_e32 v138, 0xbf167918, v66
	v_fmac_f32_e32 v136, 0x3f167918, v66
	v_fmamk_f32 v142, v66, 0x3f737871, v65
	v_add_f32_e32 v140, v143, v94
	s_delay_alu instid0(VALU_DEP_1) | instskip(SKIP_3) | instid1(VALU_DEP_1)
	v_dual_fmac_f32 v142, 0xbf167918, v96 :: v_dual_add_f32 v67, v140, v95
	v_dual_sub_f32 v115, v92, v94 :: v_dual_sub_f32 v140, v93, v95
	v_sub_f32_e32 v92, v94, v92
	v_dual_sub_f32 v94, v95, v93 :: v_dual_fmac_f32 v65, 0xbf737871, v66
	v_dual_add_f32 v66, v92, v94 :: v_dual_add_f32 v95, v115, v140
	s_delay_alu instid0(VALU_DEP_2) | instskip(SKIP_1) | instid1(VALU_DEP_3)
	v_dual_fmac_f32 v65, 0x3f167918, v96 :: v_dual_add_f32 v140, v67, v93
	v_and_b32_e32 v67, 0xffff, v90
	v_fmac_f32_e32 v142, 0x3e9e377a, v66
	s_delay_alu instid0(VALU_DEP_3) | instskip(SKIP_1) | instid1(VALU_DEP_4)
	v_dual_fmac_f32 v138, 0x3e9e377a, v95 :: v_dual_fmac_f32 v65, 0x3e9e377a, v66
	v_and_b32_e32 v66, 0xffff, v91
	v_lshl_add_u32 v83, v67, 3, v201
	v_add_nc_u32_e32 v67, 0x1800, v209
	v_fmac_f32_e32 v136, 0x3e9e377a, v95
	s_delay_alu instid0(VALU_DEP_4) | instskip(SKIP_2) | instid1(VALU_DEP_3)
	v_lshl_add_u32 v211, v66, 3, v201
	v_add_nc_u32_e32 v66, 0x1000, v209
	v_add_nc_u32_e32 v82, 0x2800, v83
	;; [unrolled: 1-line block ×4, first 2 shown]
	ds_store_2addr_b64 v66, v[125:126], v[111:112] offset0:138 offset1:203
	ds_store_2addr_b64 v67, v[113:114], v[76:77] offset0:12 offset1:77
	;; [unrolled: 1-line block ×6, first 2 shown]
	ds_store_b64 v209, v[101:102] offset:7280
	ds_store_b64 v211, v[127:128] offset:9880
	v_lshlrev_b32_e32 v64, 5, v84
	v_lshlrev_b32_e32 v65, 5, v85
	scratch_store_b32 off, v83, off offset:28 ; 4-byte Folded Spill
	ds_store_b64 v83, v[135:136] offset:12480
	s_waitcnt lgkmcnt(0)
	s_waitcnt_vscnt null, 0x0
	s_barrier
	buffer_gl0_inv
	s_clause 0x4
	global_load_b128 v[96:99], v88, s[0:1] offset:2496
	global_load_b128 v[104:107], v88, s[0:1] offset:2512
	;; [unrolled: 1-line block ×5, first 2 shown]
	v_lshlrev_b32_e32 v64, 5, v86
	s_clause 0x1
	global_load_b128 v[100:103], v65, s[0:1] offset:2512
	global_load_b128 v[76:79], v64, s[0:1] offset:2496
	v_lshlrev_b32_e32 v65, 5, v87
	s_clause 0x2
	global_load_b128 v[88:91], v64, s[0:1] offset:2512
	global_load_b128 v[84:87], v65, s[0:1] offset:2496
	;; [unrolled: 1-line block ×3, first 2 shown]
	ds_load_2addr_b64 v[112:115], v119 offset0:4 offset1:69
	ds_load_2addr_b64 v[125:128], v116 offset0:138 offset1:203
	;; [unrolled: 1-line block ×6, first 2 shown]
	ds_load_2addr_b64 v[134:137], v199 offset1:65
	ds_load_2addr_b64 v[120:123], v199 offset0:130 offset1:195
	ds_load_2addr_b64 v[154:157], v117 offset0:12 offset1:77
	;; [unrolled: 1-line block ×5, first 2 shown]
	ds_load_b64 v[158:159], v199 offset:12480
	s_waitcnt vmcnt(9) lgkmcnt(12)
	v_mul_f32_e32 v124, v115, v97
	s_waitcnt vmcnt(7) lgkmcnt(8)
	v_mul_f32_e32 v222, v147, v81
	v_mul_f32_e32 v193, v114, v97
	;; [unrolled: 1-line block ×3, first 2 shown]
	v_dual_mul_f32 v194, v125, v99 :: v_dual_mul_f32 v197, v132, v105
	v_mul_f32_e32 v198, v131, v105
	s_waitcnt vmcnt(5)
	v_dual_mul_f32 v203, v143, v107 :: v_dual_mul_f32 v230, v149, v93
	s_waitcnt lgkmcnt(7)
	v_dual_mul_f32 v221, v142, v107 :: v_dual_mul_f32 v226, v151, v109
	v_dual_mul_f32 v224, v128, v83 :: v_dual_mul_f32 v227, v150, v109
	s_waitcnt vmcnt(4)
	v_dual_mul_f32 v225, v127, v83 :: v_dual_mul_f32 v234, v153, v101
	v_dual_mul_f32 v228, v145, v111 :: v_dual_mul_f32 v231, v148, v93
	v_mul_f32_e32 v223, v146, v81
	s_waitcnt vmcnt(3) lgkmcnt(2)
	v_dual_mul_f32 v229, v144, v111 :: v_dual_mul_f32 v238, v117, v77
	v_dual_mul_f32 v232, v155, v95 :: v_dual_mul_f32 v235, v152, v101
	s_waitcnt vmcnt(1)
	v_dual_mul_f32 v233, v154, v95 :: v_dual_mul_f32 v246, v119, v85
	v_dual_mul_f32 v236, v214, v103 :: v_dual_mul_f32 v239, v116, v77
	s_waitcnt lgkmcnt(1)
	v_dual_mul_f32 v237, v213, v103 :: v_dual_mul_f32 v242, v218, v89
	v_dual_mul_f32 v240, v157, v79 :: v_dual_fmac_f32 v225, v128, v82
	v_dual_mul_f32 v241, v156, v79 :: v_dual_mul_f32 v138, v118, v85
	v_dual_mul_f32 v243, v217, v89 :: v_dual_mul_f32 v244, v216, v91
	s_waitcnt vmcnt(0)
	v_dual_mul_f32 v245, v215, v91 :: v_dual_mul_f32 v248, v220, v65
	v_dual_mul_f32 v247, v130, v87 :: v_dual_mul_f32 v140, v219, v65
	v_dual_mul_f32 v139, v129, v87 :: v_dual_fmac_f32 v194, v126, v98
	s_waitcnt lgkmcnt(0)
	v_dual_mul_f32 v249, v159, v67 :: v_dual_fmac_f32 v198, v132, v104
	v_fma_f32 v125, v125, v98, -v133
	v_fma_f32 v126, v127, v82, -v224
	;; [unrolled: 1-line block ×3, first 2 shown]
	v_fmac_f32_e32 v193, v115, v96
	v_fma_f32 v115, v131, v104, -v197
	v_fma_f32 v124, v142, v106, -v203
	v_dual_fmac_f32 v221, v143, v106 :: v_dual_fmac_f32 v140, v220, v64
	v_fma_f32 v128, v146, v80, -v222
	v_fma_f32 v131, v150, v108, -v226
	;; [unrolled: 1-line block ×3, first 2 shown]
	v_dual_mul_f32 v141, v158, v67 :: v_dual_fmac_f32 v138, v119, v84
	v_fmac_f32_e32 v227, v151, v108
	v_fmac_f32_e32 v229, v145, v110
	v_fma_f32 v203, v148, v92, -v230
	v_sub_f32_e32 v148, v115, v124
	v_fma_f32 v222, v154, v94, -v232
	v_fmac_f32_e32 v233, v155, v94
	v_fma_f32 v224, v152, v100, -v234
	v_fmac_f32_e32 v237, v214, v102
	;; [unrolled: 2-line block ×3, first 2 shown]
	v_dual_fmac_f32 v241, v157, v78 :: v_dual_add_f32 v214, v128, v132
	v_dual_fmac_f32 v243, v218, v88 :: v_dual_sub_f32 v152, v221, v198
	v_fma_f32 v218, v215, v90, -v244
	v_dual_fmac_f32 v245, v216, v90 :: v_dual_sub_f32 v216, v131, v132
	v_fma_f32 v133, v129, v86, -v247
	v_fmac_f32_e32 v139, v130, v86
	v_fma_f32 v143, v158, v66, -v249
	v_dual_add_f32 v116, v134, v114 :: v_dual_fmac_f32 v223, v147, v80
	v_dual_fmac_f32 v235, v153, v100 :: v_dual_sub_f32 v154, v194, v193
	s_delay_alu instid0(VALU_DEP_2)
	v_dual_add_f32 v117, v125, v115 :: v_dual_add_f32 v116, v116, v125
	v_dual_sub_f32 v130, v124, v115 :: v_dual_sub_f32 v151, v193, v194
	v_sub_f32_e32 v119, v194, v198
	v_sub_f32_e32 v155, v198, v221
	v_dual_sub_f32 v147, v125, v114 :: v_dual_add_f32 v158, v126, v131
	v_sub_f32_e32 v215, v126, v128
	v_sub_f32_e32 v129, v114, v125
	v_dual_fmac_f32 v231, v149, v92 :: v_dual_add_f32 v150, v194, v198
	v_fma_f32 v226, v213, v102, -v236
	v_fma_f32 v230, v156, v78, -v240
	;; [unrolled: 1-line block ×3, first 2 shown]
	v_dual_fmac_f32 v141, v159, v66 :: v_dual_sub_f32 v118, v193, v221
	v_add_f32_e32 v156, v136, v128
	v_fma_f32 v144, -0.5, v117, v134
	v_add_f32_e32 v149, v135, v193
	v_sub_f32_e32 v157, v125, v115
	v_add_f32_e32 v125, v147, v148
	v_fma_f32 v148, -0.5, v158, v136
	v_sub_f32_e32 v213, v225, v227
	v_fma_f32 v136, -0.5, v214, v136
	v_sub_f32_e32 v197, v223, v229
	v_dual_sub_f32 v159, v128, v126 :: v_dual_add_f32 v214, v215, v216
	v_dual_add_f32 v117, v129, v130 :: v_dual_add_f32 v130, v151, v152
	v_add_f32_e32 v153, v193, v221
	v_sub_f32_e32 v193, v132, v131
	v_add_f32_e32 v145, v114, v124
	v_add_f32_e32 v129, v149, v194
	v_fma_f32 v142, v219, v64, -v248
	v_sub_f32_e32 v114, v114, v124
	v_add_f32_e32 v194, v159, v193
	v_fma_f32 v146, -0.5, v145, v134
	v_fma_f32 v145, -0.5, v150, v135
	v_fmamk_f32 v150, v118, 0x3f737871, v144
	v_fmac_f32_e32 v144, 0xbf737871, v118
	v_add_f32_e32 v220, v225, v227
	v_fmamk_f32 v152, v119, 0xbf737871, v146
	v_fmac_f32_e32 v146, 0x3f737871, v119
	v_fma_f32 v147, -0.5, v153, v135
	v_dual_add_f32 v135, v156, v126 :: v_dual_fmamk_f32 v156, v213, 0xbf737871, v136
	v_dual_add_f32 v115, v116, v115 :: v_dual_add_f32 v116, v129, v198
	v_add_f32_e32 v134, v154, v155
	v_fmamk_f32 v154, v197, 0x3f737871, v148
	s_delay_alu instid0(VALU_DEP_4) | instskip(SKIP_4) | instid1(VALU_DEP_4)
	v_fmac_f32_e32 v156, 0x3f167918, v197
	v_dual_fmac_f32 v148, 0xbf737871, v197 :: v_dual_add_f32 v219, v137, v223
	v_add_f32_e32 v158, v115, v124
	v_fmac_f32_e32 v150, 0x3f167918, v119
	v_fmac_f32_e32 v144, 0xbf167918, v119
	v_dual_fmac_f32 v148, 0xbf167918, v213 :: v_dual_add_f32 v129, v135, v131
	v_dual_add_f32 v215, v219, v225 :: v_dual_fmac_f32 v146, 0xbf167918, v118
	v_fmamk_f32 v151, v114, 0xbf737871, v145
	v_dual_fmamk_f32 v153, v157, 0x3f737871, v147 :: v_dual_fmac_f32 v136, 0x3f737871, v213
	v_fmac_f32_e32 v154, 0x3f167918, v213
	v_add_f32_e32 v159, v116, v221
	v_dual_fmac_f32 v150, 0x3e9e377a, v117 :: v_dual_add_f32 v193, v129, v132
	v_fmac_f32_e32 v144, 0x3e9e377a, v117
	v_dual_fmac_f32 v148, 0x3e9e377a, v194 :: v_dual_sub_f32 v115, v223, v225
	v_dual_fmac_f32 v156, 0x3e9e377a, v214 :: v_dual_add_f32 v117, v223, v229
	v_sub_f32_e32 v116, v229, v227
	v_sub_f32_e32 v128, v128, v132
	v_fma_f32 v149, -0.5, v220, v137
	v_fmac_f32_e32 v147, 0xbf737871, v157
	v_fmac_f32_e32 v152, 0x3f167918, v118
	;; [unrolled: 1-line block ×3, first 2 shown]
	v_dual_add_f32 v118, v215, v227 :: v_dual_fmac_f32 v153, 0xbf167918, v114
	v_add_f32_e32 v115, v115, v116
	v_dual_fmac_f32 v137, -0.5, v117 :: v_dual_sub_f32 v116, v225, v223
	v_sub_f32_e32 v117, v227, v229
	v_fmac_f32_e32 v145, 0x3f737871, v114
	v_fmamk_f32 v155, v128, 0xbf737871, v149
	v_fmac_f32_e32 v151, 0xbf167918, v157
	s_delay_alu instid0(VALU_DEP_4)
	v_dual_fmac_f32 v147, 0x3f167918, v114 :: v_dual_add_f32 v116, v116, v117
	v_fmac_f32_e32 v154, 0x3e9e377a, v194
	v_sub_f32_e32 v114, v126, v131
	v_dual_add_f32 v194, v118, v229 :: v_dual_fmac_f32 v149, 0x3f737871, v128
	v_dual_add_f32 v118, v120, v203 :: v_dual_sub_f32 v117, v231, v237
	v_add_f32_e32 v119, v222, v224
	v_fmac_f32_e32 v145, 0x3f167918, v157
	v_dual_fmac_f32 v147, 0x3e9e377a, v134 :: v_dual_sub_f32 v124, v233, v235
	v_fmac_f32_e32 v155, 0xbf167918, v114
	v_fmamk_f32 v157, v114, 0x3f737871, v137
	v_fmac_f32_e32 v149, 0x3f167918, v114
	v_fmac_f32_e32 v137, 0xbf737871, v114
	v_add_f32_e32 v114, v118, v222
	v_fma_f32 v118, -0.5, v119, v120
	v_dual_fmac_f32 v152, 0x3e9e377a, v125 :: v_dual_fmac_f32 v151, 0x3e9e377a, v130
	v_dual_fmac_f32 v146, 0x3e9e377a, v125 :: v_dual_fmac_f32 v145, 0x3e9e377a, v130
	s_delay_alu instid0(VALU_DEP_4) | instskip(NEXT) | instid1(VALU_DEP_4)
	v_dual_fmac_f32 v153, 0x3e9e377a, v134 :: v_dual_add_f32 v114, v114, v224
	v_fmamk_f32 v197, v117, 0x3f737871, v118
	v_sub_f32_e32 v119, v203, v222
	v_dual_sub_f32 v125, v226, v224 :: v_dual_fmac_f32 v118, 0xbf737871, v117
	v_fma_f32 v217, v217, v88, -v242
	v_add_f32_e32 v213, v114, v226
	s_delay_alu instid0(VALU_DEP_3) | instskip(NEXT) | instid1(VALU_DEP_4)
	v_dual_fmac_f32 v197, 0x3f167918, v124 :: v_dual_add_f32 v114, v119, v125
	v_dual_fmac_f32 v118, 0xbf167918, v124 :: v_dual_add_f32 v125, v121, v231
	v_dual_fmac_f32 v136, 0x3e9e377a, v214 :: v_dual_fmac_f32 v155, 0x3e9e377a, v115
	v_dual_fmac_f32 v157, 0xbf167918, v128 :: v_dual_sub_f32 v126, v237, v235
	s_delay_alu instid0(VALU_DEP_4) | instskip(NEXT) | instid1(VALU_DEP_4)
	v_fmac_f32_e32 v197, 0x3e9e377a, v114
	v_fmac_f32_e32 v118, 0x3e9e377a, v114
	v_dual_add_f32 v114, v125, v233 :: v_dual_fmac_f32 v149, 0x3e9e377a, v115
	s_delay_alu instid0(VALU_DEP_4) | instskip(SKIP_1) | instid1(VALU_DEP_3)
	v_fmac_f32_e32 v157, 0x3e9e377a, v116
	v_add_f32_e32 v115, v203, v226
	v_dual_sub_f32 v125, v231, v233 :: v_dual_add_f32 v114, v114, v235
	v_fmac_f32_e32 v137, 0x3f167918, v128
	v_dual_sub_f32 v119, v224, v226 :: v_dual_add_f32 v128, v231, v237
	s_delay_alu instid0(VALU_DEP_3) | instskip(NEXT) | instid1(VALU_DEP_3)
	v_dual_add_f32 v125, v125, v126 :: v_dual_add_f32 v214, v114, v237
	v_fmac_f32_e32 v137, 0x3e9e377a, v116
	v_fma_f32 v116, -0.5, v115, v120
	v_sub_f32_e32 v115, v222, v203
	v_add_f32_e32 v120, v233, v235
	v_sub_f32_e32 v114, v233, v231
	v_add_f32_e32 v131, v123, v239
	v_fmamk_f32 v215, v124, 0xbf737871, v116
	v_add_f32_e32 v115, v115, v119
	v_fma_f32 v119, -0.5, v120, v121
	v_sub_f32_e32 v120, v203, v226
	v_fmac_f32_e32 v116, 0x3f737871, v124
	v_sub_f32_e32 v124, v222, v224
	v_add_f32_e32 v126, v230, v217
	v_sub_f32_e32 v132, v228, v218
	v_fmamk_f32 v198, v120, 0xbf737871, v119
	v_fmac_f32_e32 v215, 0x3f167918, v117
	v_fmac_f32_e32 v116, 0xbf167918, v117
	v_fma_f32 v117, -0.5, v128, v121
	v_fmac_f32_e32 v119, 0x3f737871, v120
	v_fmac_f32_e32 v198, 0xbf167918, v124
	s_delay_alu instid0(VALU_DEP_4) | instskip(NEXT) | instid1(VALU_DEP_4)
	v_dual_add_f32 v121, v122, v228 :: v_dual_fmac_f32 v116, 0x3e9e377a, v115
	v_fmamk_f32 v216, v124, 0x3f737871, v117
	v_fmac_f32_e32 v117, 0xbf737871, v124
	v_fmac_f32_e32 v119, 0x3f167918, v124
	;; [unrolled: 1-line block ×3, first 2 shown]
	v_fma_f32 v124, -0.5, v126, v122
	v_fmac_f32_e32 v216, 0xbf167918, v120
	v_dual_fmac_f32 v117, 0x3f167918, v120 :: v_dual_sub_f32 v134, v245, v243
	v_dual_add_f32 v120, v228, v218 :: v_dual_fmac_f32 v119, 0x3e9e377a, v125
	v_dual_sub_f32 v126, v241, v243 :: v_dual_sub_f32 v125, v228, v230
	v_add_f32_e32 v135, v239, v245
	s_delay_alu instid0(VALU_DEP_3) | instskip(SKIP_3) | instid1(VALU_DEP_4)
	v_fma_f32 v122, -0.5, v120, v122
	v_sub_f32_e32 v129, v218, v217
	v_fmac_f32_e32 v215, 0x3e9e377a, v115
	v_sub_f32_e32 v115, v235, v237
	v_dual_add_f32 v219, v113, v138 :: v_dual_fmamk_f32 v120, v126, 0xbf737871, v122
	v_fmac_f32_e32 v122, 0x3f737871, v126
	s_delay_alu instid0(VALU_DEP_3) | instskip(NEXT) | instid1(VALU_DEP_1)
	v_dual_add_f32 v114, v114, v115 :: v_dual_add_f32 v115, v121, v230
	v_dual_sub_f32 v121, v239, v245 :: v_dual_fmac_f32 v216, 0x3e9e377a, v114
	s_delay_alu instid0(VALU_DEP_1) | instskip(SKIP_1) | instid1(VALU_DEP_2)
	v_fmamk_f32 v130, v121, 0x3f737871, v124
	v_fmac_f32_e32 v124, 0xbf737871, v121
	v_fmac_f32_e32 v130, 0x3f167918, v126
	s_delay_alu instid0(VALU_DEP_2) | instskip(SKIP_4) | instid1(VALU_DEP_3)
	v_fmac_f32_e32 v124, 0xbf167918, v126
	v_fmac_f32_e32 v122, 0xbf167918, v121
	v_dual_fmac_f32 v117, 0x3e9e377a, v114 :: v_dual_add_f32 v114, v125, v129
	v_dual_sub_f32 v126, v230, v217 :: v_dual_sub_f32 v125, v217, v218
	v_dual_add_f32 v129, v241, v243 :: v_dual_fmac_f32 v120, 0x3f167918, v121
	v_fmac_f32_e32 v130, 0x3e9e377a, v114
	v_fmac_f32_e32 v124, 0x3e9e377a, v114
	v_add_f32_e32 v114, v131, v241
	v_add_f32_e32 v115, v115, v217
	s_delay_alu instid0(VALU_DEP_2) | instskip(NEXT) | instid1(VALU_DEP_2)
	v_dual_sub_f32 v217, v127, v133 :: v_dual_add_f32 v114, v114, v243
	v_dual_add_f32 v128, v115, v218 :: v_dual_sub_f32 v115, v230, v228
	v_sub_f32_e32 v218, v143, v142
	s_delay_alu instid0(VALU_DEP_2) | instskip(SKIP_3) | instid1(VALU_DEP_3)
	v_add_f32_e32 v115, v115, v125
	v_fma_f32 v125, -0.5, v129, v123
	v_fmac_f32_e32 v123, -0.5, v135
	v_add_f32_e32 v135, v112, v127
	v_fmamk_f32 v131, v132, 0xbf737871, v125
	v_fmac_f32_e32 v125, 0x3f737871, v132
	s_delay_alu instid0(VALU_DEP_4) | instskip(SKIP_1) | instid1(VALU_DEP_4)
	v_fmamk_f32 v121, v126, 0x3f737871, v123
	v_fmac_f32_e32 v123, 0xbf737871, v126
	v_fmac_f32_e32 v131, 0xbf167918, v126
	s_delay_alu instid0(VALU_DEP_4) | instskip(SKIP_2) | instid1(VALU_DEP_3)
	v_dual_fmac_f32 v125, 0x3f167918, v126 :: v_dual_add_f32 v126, v135, v133
	v_sub_f32_e32 v135, v138, v141
	v_fmac_f32_e32 v121, 0xbf167918, v132
	v_dual_fmac_f32 v123, 0x3f167918, v132 :: v_dual_add_f32 v126, v126, v142
	s_delay_alu instid0(VALU_DEP_1) | instskip(NEXT) | instid1(VALU_DEP_1)
	v_dual_sub_f32 v129, v239, v241 :: v_dual_add_f32 v126, v126, v143
	v_dual_add_f32 v134, v129, v134 :: v_dual_add_f32 v129, v114, v245
	v_sub_f32_e32 v114, v241, v239
	v_fmac_f32_e32 v120, 0x3e9e377a, v115
	v_dual_fmac_f32 v122, 0x3e9e377a, v115 :: v_dual_sub_f32 v115, v243, v245
	s_delay_alu instid0(VALU_DEP_1) | instskip(NEXT) | instid1(VALU_DEP_1)
	v_add_f32_e32 v115, v114, v115
	v_fmac_f32_e32 v121, 0x3e9e377a, v115
	v_fmac_f32_e32 v123, 0x3e9e377a, v115
	v_add_f32_e32 v115, v217, v218
	v_add_f32_e32 v203, v133, v142
	v_sub_f32_e32 v217, v133, v127
	v_sub_f32_e32 v218, v142, v143
	;; [unrolled: 1-line block ×3, first 2 shown]
	s_delay_alu instid0(VALU_DEP_4) | instskip(SKIP_1) | instid1(VALU_DEP_4)
	v_fma_f32 v114, -0.5, v203, v112
	v_sub_f32_e32 v203, v139, v140
	v_add_f32_e32 v217, v217, v218
	v_dual_fmac_f32 v125, 0x3e9e377a, v134 :: v_dual_add_f32 v218, v139, v140
	s_delay_alu instid0(VALU_DEP_4) | instskip(SKIP_1) | instid1(VALU_DEP_2)
	v_fmamk_f32 v132, v135, 0x3f737871, v114
	v_fmac_f32_e32 v114, 0xbf737871, v135
	v_fmac_f32_e32 v132, 0x3f167918, v203
	v_dual_fmac_f32 v131, 0x3e9e377a, v134 :: v_dual_add_f32 v134, v127, v143
	v_sub_f32_e32 v143, v127, v143
	s_delay_alu instid0(VALU_DEP_3) | instskip(NEXT) | instid1(VALU_DEP_3)
	v_fmac_f32_e32 v132, 0x3e9e377a, v115
	v_fma_f32 v112, -0.5, v134, v112
	s_delay_alu instid0(VALU_DEP_1) | instskip(SKIP_1) | instid1(VALU_DEP_2)
	v_fmamk_f32 v134, v203, 0xbf737871, v112
	v_fmac_f32_e32 v112, 0x3f737871, v203
	v_fmac_f32_e32 v134, 0x3f167918, v135
	s_delay_alu instid0(VALU_DEP_2) | instskip(SKIP_1) | instid1(VALU_DEP_3)
	v_fmac_f32_e32 v112, 0xbf167918, v135
	v_fmac_f32_e32 v114, 0xbf167918, v203
	v_dual_add_f32 v203, v219, v139 :: v_dual_fmac_f32 v134, 0x3e9e377a, v217
	s_delay_alu instid0(VALU_DEP_3) | instskip(NEXT) | instid1(VALU_DEP_2)
	v_fmac_f32_e32 v112, 0x3e9e377a, v217
	v_dual_fmac_f32 v114, 0x3e9e377a, v115 :: v_dual_add_f32 v135, v203, v140
	v_fma_f32 v115, -0.5, v218, v113
	v_add_f32_e32 v203, v138, v141
	v_sub_f32_e32 v217, v141, v140
	s_delay_alu instid0(VALU_DEP_4) | instskip(NEXT) | instid1(VALU_DEP_4)
	v_add_f32_e32 v127, v135, v141
	v_fmamk_f32 v133, v143, 0xbf737871, v115
	s_delay_alu instid0(VALU_DEP_4) | instskip(SKIP_3) | instid1(VALU_DEP_4)
	v_fmac_f32_e32 v113, -0.5, v203
	v_sub_f32_e32 v203, v138, v139
	v_dual_fmac_f32 v115, 0x3f737871, v143 :: v_dual_sub_f32 v138, v139, v138
	v_sub_f32_e32 v139, v140, v141
	v_fmamk_f32 v135, v142, 0x3f737871, v113
	s_delay_alu instid0(VALU_DEP_4) | instskip(NEXT) | instid1(VALU_DEP_4)
	v_dual_fmac_f32 v133, 0xbf167918, v142 :: v_dual_add_f32 v140, v203, v217
	v_fmac_f32_e32 v115, 0x3f167918, v142
	v_fmac_f32_e32 v113, 0xbf737871, v142
	v_lshl_add_u32 v203, v200, 3, v201
	v_fmac_f32_e32 v135, 0xbf167918, v143
	v_add_f32_e32 v141, v138, v139
	v_fmac_f32_e32 v133, 0x3e9e377a, v140
	v_fmac_f32_e32 v115, 0x3e9e377a, v140
	;; [unrolled: 1-line block ×3, first 2 shown]
	v_add_nc_u32_e32 v140, 0x800, v203
	v_add_nc_u32_e32 v138, 0x1000, v203
	;; [unrolled: 1-line block ×4, first 2 shown]
	v_fmac_f32_e32 v135, 0x3e9e377a, v141
	v_fmac_f32_e32 v113, 0x3e9e377a, v141
	ds_store_2addr_b64 v140, v[150:151], v[154:155] offset0:69 offset1:134
	ds_store_2addr_b64 v138, v[152:153], v[156:157] offset0:138 offset1:203
	;; [unrolled: 1-line block ×5, first 2 shown]
	ds_store_b64 v199, v[158:159]
	ds_store_b64 v199, v[197:198] offset:3640
	ds_store_b64 v199, v[215:216] offset:6240
	;; [unrolled: 1-line block ×14, first 2 shown]
	v_add_co_u32 v193, s0, 0x3000, v164
	s_delay_alu instid0(VALU_DEP_1) | instskip(SKIP_1) | instid1(VALU_DEP_1)
	v_add_co_ci_u32_e64 v194, s0, 0, v165, s0
	v_add_co_u32 v136, s0, 0x32c8, v164
	v_add_co_ci_u32_e64 v137, s0, 0, v165, s0
	v_add_co_u32 v141, s0, 0x4000, v164
	s_delay_alu instid0(VALU_DEP_1) | instskip(SKIP_1) | instid1(VALU_DEP_1)
	v_add_co_ci_u32_e64 v142, s0, 0, v165, s0
	v_add_co_u32 v143, s0, 0x5000, v164
	v_add_co_ci_u32_e64 v144, s0, 0, v165, s0
	s_waitcnt lgkmcnt(0)
	s_barrier
	buffer_gl0_inv
	s_clause 0x9
	global_load_b64 v[150:151], v[193:194], off offset:712
	global_load_b64 v[157:158], v[136:137], off offset:1000
	;; [unrolled: 1-line block ×10, first 2 shown]
	v_add_co_u32 v141, s0, 0x6000, v164
	s_delay_alu instid0(VALU_DEP_1)
	v_add_co_ci_u32_e64 v142, s0, 0, v165, s0
	s_clause 0x2
	global_load_b64 v[243:244], v[143:144], off offset:2520
	global_load_b64 v[245:246], v[143:144], off offset:3520
	;; [unrolled: 1-line block ×3, first 2 shown]
	v_add_nc_u32_e32 v141, 0x400, v199
	v_add_nc_u32_e32 v142, 0xc00, v199
	;; [unrolled: 1-line block ×5, first 2 shown]
	ds_load_2addr_b64 v[146:149], v199 offset1:125
	ds_load_2addr_b64 v[153:156], v141 offset0:122 offset1:247
	ds_load_2addr_b64 v[213:216], v142 offset0:116 offset1:241
	;; [unrolled: 1-line block ×5, first 2 shown]
	ds_load_b64 v[249:250], v199 offset:12000
	s_waitcnt vmcnt(7) lgkmcnt(4)
	v_mul_f32_e32 v202, v216, v234
	v_mul_f32_e32 v253, v154, v198
	;; [unrolled: 1-line block ×3, first 2 shown]
	v_dual_mul_f32 v159, v146, v151 :: v_dual_mul_f32 v252, v153, v198
	v_mul_f32_e32 v254, v156, v230
	v_dual_mul_f32 v198, v155, v230 :: v_dual_mul_f32 v255, v214, v232
	v_mul_f32_e32 v230, v213, v232
	v_mul_f32_e32 v232, v215, v234
	s_waitcnt vmcnt(6) lgkmcnt(3)
	v_mul_f32_e32 v210, v218, v236
	v_mul_f32_e32 v234, v217, v236
	s_waitcnt vmcnt(5)
	v_mul_f32_e32 v188, v220, v238
	v_mul_f32_e32 v236, v219, v238
	s_waitcnt vmcnt(4) lgkmcnt(2)
	v_mul_f32_e32 v204, v222, v240
	v_mul_f32_e32 v238, v221, v240
	;; [unrolled: 1-line block ×3, first 2 shown]
	s_waitcnt vmcnt(3)
	v_mul_f32_e32 v205, v224, v242
	v_mul_f32_e32 v240, v223, v242
	s_waitcnt vmcnt(2) lgkmcnt(1)
	v_dual_mul_f32 v242, v225, v244 :: v_dual_mul_f32 v151, v148, v158
	s_waitcnt vmcnt(1)
	v_dual_mul_f32 v206, v226, v244 :: v_dual_mul_f32 v207, v228, v246
	v_mul_f32_e32 v244, v227, v246
	s_delay_alu instid0(VALU_DEP_3)
	v_fmac_f32_e32 v242, v226, v243
	s_waitcnt vmcnt(0) lgkmcnt(0)
	v_mul_f32_e32 v246, v249, v248
	v_mul_f32_e32 v208, v250, v248
	v_fma_f32 v158, v146, v150, -v143
	v_fmac_f32_e32 v159, v147, v150
	v_dual_fmac_f32 v151, v149, v157 :: v_dual_fmac_f32 v238, v222, v239
	v_fma_f32 v150, v148, v157, -v251
	v_fma_f32 v251, v153, v197, -v253
	v_fmac_f32_e32 v252, v154, v197
	v_fma_f32 v197, v155, v229, -v254
	v_fmac_f32_e32 v198, v156, v229
	;; [unrolled: 2-line block ×7, first 2 shown]
	v_fmac_f32_e32 v246, v250, v247
	v_fma_f32 v239, v223, v241, -v205
	v_fma_f32 v241, v225, v243, -v206
	;; [unrolled: 1-line block ×3, first 2 shown]
	v_fmac_f32_e32 v244, v228, v245
	v_fma_f32 v245, v249, v247, -v208
	ds_store_2addr_b64 v199, v[158:159], v[150:151] offset1:125
	ds_store_2addr_b64 v141, v[251:252], v[197:198] offset0:122 offset1:247
	ds_store_2addr_b64 v142, v[229:230], v[231:232] offset0:116 offset1:241
	;; [unrolled: 1-line block ×5, first 2 shown]
	ds_store_b64 v199, v[245:246] offset:12000
	s_and_saveexec_b32 s1, vcc_lo
	s_cbranch_execz .LBB0_9
; %bb.8:
	s_clause 0x3
	global_load_b64 v[150:151], v[136:137], off offset:520
	global_load_b64 v[157:158], v[136:137], off offset:1520
	;; [unrolled: 1-line block ×4, first 2 shown]
	v_add_co_u32 v146, s0, 0x1000, v136
	s_delay_alu instid0(VALU_DEP_1) | instskip(SKIP_1) | instid1(VALU_DEP_1)
	v_add_co_ci_u32_e64 v147, s0, 0, v137, s0
	v_add_co_u32 v148, s0, 0x2000, v136
	v_add_co_ci_u32_e64 v149, s0, 0, v137, s0
	v_add_co_u32 v136, s0, 0x3000, v136
	global_load_b64 v[231:232], v[146:147], off offset:424
	v_add_co_ci_u32_e64 v137, s0, 0, v137, s0
	s_clause 0x7
	global_load_b64 v[233:234], v[146:147], off offset:1424
	global_load_b64 v[235:236], v[146:147], off offset:2424
	;; [unrolled: 1-line block ×8, first 2 shown]
	ds_load_2addr_b64 v[146:149], v203 offset0:65 offset1:190
	ds_load_2addr_b64 v[153:156], v140 offset0:59 offset1:184
	v_add_nc_u32_e32 v143, 0x1800, v203
	v_add_nc_u32_e32 v188, 0x2000, v203
	s_waitcnt vmcnt(12) lgkmcnt(1)
	v_mul_f32_e32 v202, v147, v151
	s_waitcnt vmcnt(10) lgkmcnt(0)
	v_dual_mul_f32 v159, v146, v151 :: v_dual_mul_f32 v250, v153, v198
	v_mul_f32_e32 v204, v149, v158
	v_mul_f32_e32 v151, v148, v158
	ds_load_2addr_b64 v[213:216], v138 offset0:53 offset1:178
	ds_load_2addr_b64 v[217:220], v139 offset0:35 offset1:160
	ds_load_b64 v[247:248], v203 offset:12520
	ds_load_2addr_b64 v[221:224], v143 offset0:47 offset1:172
	ds_load_2addr_b64 v[225:228], v188 offset0:41 offset1:166
	v_mul_f32_e32 v205, v154, v198
	s_waitcnt vmcnt(9)
	v_mul_f32_e32 v198, v155, v230
	v_dual_mul_f32 v206, v156, v230 :: v_dual_fmac_f32 v151, v149, v157
	v_fma_f32 v158, v146, v150, -v202
	v_dual_fmac_f32 v159, v147, v150 :: v_dual_fmac_f32 v250, v154, v197
	v_fma_f32 v150, v148, v157, -v204
	v_fma_f32 v249, v153, v197, -v205
	v_fma_f32 v197, v155, v229, -v206
	s_waitcnt vmcnt(8) lgkmcnt(4)
	v_mul_f32_e32 v146, v214, v232
	v_dual_mul_f32 v147, v213, v232 :: v_dual_fmac_f32 v198, v156, v229
	s_waitcnt vmcnt(7)
	v_mul_f32_e32 v149, v215, v234
	s_waitcnt vmcnt(6) lgkmcnt(1)
	v_dual_mul_f32 v148, v216, v234 :: v_dual_mul_f32 v153, v222, v236
	s_waitcnt vmcnt(1)
	v_dual_mul_f32 v154, v221, v236 :: v_dual_mul_f32 v205, v220, v246
	v_mul_f32_e32 v155, v224, v238
	s_waitcnt lgkmcnt(0)
	v_dual_mul_f32 v156, v223, v238 :: v_dual_mul_f32 v157, v226, v240
	v_dual_mul_f32 v230, v225, v240 :: v_dual_fmac_f32 v147, v214, v231
	v_mul_f32_e32 v202, v228, v242
	v_dual_mul_f32 v232, v227, v242 :: v_dual_fmac_f32 v149, v216, v233
	v_mul_f32_e32 v204, v218, v244
	v_mul_f32_e32 v234, v217, v244
	;; [unrolled: 1-line block ×3, first 2 shown]
	s_waitcnt vmcnt(0)
	v_mul_f32_e32 v206, v248, v137
	v_mul_f32_e32 v238, v247, v137
	v_fma_f32 v146, v213, v231, -v146
	v_fma_f32 v148, v215, v233, -v148
	;; [unrolled: 1-line block ×3, first 2 shown]
	v_fmac_f32_e32 v154, v222, v235
	v_fma_f32 v155, v223, v237, -v155
	v_fmac_f32_e32 v156, v224, v237
	v_fma_f32 v229, v225, v239, -v157
	;; [unrolled: 2-line block ×6, first 2 shown]
	v_fmac_f32_e32 v238, v248, v136
	ds_store_2addr_b64 v203, v[158:159], v[150:151] offset0:65 offset1:190
	ds_store_2addr_b64 v140, v[249:250], v[197:198] offset0:59 offset1:184
	;; [unrolled: 1-line block ×6, first 2 shown]
	ds_store_b64 v203, v[237:238] offset:12520
.LBB0_9:
	s_or_b32 exec_lo, exec_lo, s1
	s_waitcnt lgkmcnt(0)
	s_barrier
	buffer_gl0_inv
	ds_load_2addr_b64 v[156:159], v199 offset1:125
	ds_load_2addr_b64 v[148:151], v141 offset0:122 offset1:247
	ds_load_2addr_b64 v[140:143], v142 offset0:116 offset1:241
	ds_load_2addr_b64 v[136:139], v145 offset0:110 offset1:235
	ds_load_2addr_b64 v[144:147], v144 offset0:104 offset1:229
	ds_load_2addr_b64 v[152:155], v152 offset0:98 offset1:223
	ds_load_b64 v[197:198], v199 offset:12000
	s_and_saveexec_b32 s0, vcc_lo
	s_cbranch_execz .LBB0_11
; %bb.10:
	v_add_nc_u32_e32 v112, 0x800, v203
	v_add_nc_u32_e32 v113, 0x1000, v203
	;; [unrolled: 1-line block ×5, first 2 shown]
	ds_load_2addr_b64 v[116:119], v203 offset0:65 offset1:190
	ds_load_2addr_b64 v[128:131], v112 offset0:59 offset1:184
	;; [unrolled: 1-line block ×6, first 2 shown]
	ds_load_b64 v[195:196], v203 offset:12520
.LBB0_11:
	s_or_b32 exec_lo, exec_lo, s0
	s_waitcnt lgkmcnt(6)
	v_dual_add_f32 v188, v156, v158 :: v_dual_add_nc_u32 v215, 0x410, v199
	s_waitcnt lgkmcnt(0)
	v_dual_add_f32 v202, v157, v159 :: v_dual_sub_f32 v205, v159, v198
	v_add_f32_e32 v206, v198, v159
	s_delay_alu instid0(VALU_DEP_3) | instskip(SKIP_1) | instid1(VALU_DEP_2)
	v_dual_add_f32 v188, v188, v148 :: v_dual_add_nc_u32 v213, 0x820, v199
	v_dual_sub_f32 v207, v158, v197 :: v_dual_add_nc_u32 v214, 0x618, v199
	v_add_f32_e32 v188, v188, v150
	v_add_f32_e32 v202, v202, v149
	s_barrier
	buffer_gl0_inv
	v_sub_f32_e32 v231, v149, v155
	v_dual_add_f32 v159, v188, v140 :: v_dual_add_f32 v202, v202, v151
	v_dual_add_f32 v233, v154, v148 :: v_dual_sub_f32 v148, v148, v154
	v_add_f32_e32 v149, v155, v149
	s_delay_alu instid0(VALU_DEP_3) | instskip(NEXT) | instid1(VALU_DEP_1)
	v_add_f32_e32 v159, v159, v142
	v_dual_add_f32 v204, v197, v158 :: v_dual_add_f32 v159, v159, v136
	s_delay_alu instid0(VALU_DEP_1) | instskip(NEXT) | instid1(VALU_DEP_1)
	v_dual_mul_f32 v158, 0xbeedf032, v205 :: v_dual_add_f32 v159, v159, v138
	v_dual_fmamk_f32 v219, v204, 0x3f62ad3f, v158 :: v_dual_add_f32 v188, v202, v141
	v_mul_f32_e32 v217, 0x3df6dbef, v206
	v_fma_f32 v158, 0x3f62ad3f, v204, -v158
	s_delay_alu instid0(VALU_DEP_4) | instskip(SKIP_2) | instid1(VALU_DEP_3)
	v_dual_add_f32 v159, v159, v144 :: v_dual_mul_f32 v208, 0xbf52af12, v205
	v_mul_f32_e32 v227, 0xbf3f9e67, v206
	v_dual_mul_f32 v202, 0x3f62ad3f, v206 :: v_dual_add_f32 v219, v156, v219
	v_add_f32_e32 v159, v159, v146
	s_delay_alu instid0(VALU_DEP_4) | instskip(NEXT) | instid1(VALU_DEP_4)
	v_dual_mul_f32 v210, 0x3f116cb1, v206 :: v_dual_fmamk_f32 v221, v204, 0x3f116cb1, v208
	v_dual_add_f32 v224, v156, v158 :: v_dual_fmamk_f32 v229, v207, 0x3f29c268, v227
	s_delay_alu instid0(VALU_DEP_3) | instskip(NEXT) | instid1(VALU_DEP_3)
	v_add_f32_e32 v158, v159, v152
	v_fmamk_f32 v222, v207, 0x3f52af12, v210
	v_add_f32_e32 v188, v188, v143
	v_fma_f32 v208, 0x3f116cb1, v204, -v208
	s_delay_alu instid0(VALU_DEP_4) | instskip(NEXT) | instid1(VALU_DEP_3)
	v_dual_add_f32 v229, v157, v229 :: v_dual_add_f32 v158, v158, v154
	v_dual_fmac_f32 v227, 0xbf29c268, v207 :: v_dual_add_f32 v188, v188, v137
	s_delay_alu instid0(VALU_DEP_3) | instskip(NEXT) | instid1(VALU_DEP_3)
	v_add_f32_e32 v208, v156, v208
	v_dual_add_f32 v158, v158, v197 :: v_dual_fmamk_f32 v197, v207, 0x3f7e222b, v217
	s_delay_alu instid0(VALU_DEP_3) | instskip(SKIP_2) | instid1(VALU_DEP_4)
	v_add_f32_e32 v188, v188, v139
	v_fmac_f32_e32 v217, 0xbf7e222b, v207
	v_add_f32_e32 v227, v157, v227
	v_add_f32_e32 v197, v157, v197
	s_delay_alu instid0(VALU_DEP_4) | instskip(NEXT) | instid1(VALU_DEP_4)
	v_add_f32_e32 v188, v188, v145
	v_dual_add_f32 v217, v157, v217 :: v_dual_mul_f32 v234, 0xbf52af12, v231
	s_delay_alu instid0(VALU_DEP_2) | instskip(SKIP_1) | instid1(VALU_DEP_2)
	v_add_f32_e32 v188, v188, v147
	v_fmamk_f32 v220, v207, 0x3eedf032, v202
	v_dual_fmac_f32 v202, 0xbeedf032, v207 :: v_dual_add_f32 v159, v188, v153
	v_mul_f32_e32 v216, 0xbf7e222b, v205
	s_delay_alu instid0(VALU_DEP_3) | instskip(NEXT) | instid1(VALU_DEP_3)
	v_add_f32_e32 v220, v157, v220
	v_add_f32_e32 v188, v157, v202
	s_delay_alu instid0(VALU_DEP_4) | instskip(NEXT) | instid1(VALU_DEP_4)
	v_dual_add_f32 v202, v156, v221 :: v_dual_add_f32 v159, v159, v155
	v_fmamk_f32 v223, v204, 0x3df6dbef, v216
	v_dual_add_f32 v221, v157, v222 :: v_dual_mul_f32 v218, 0xbf6f5d39, v205
	s_delay_alu instid0(VALU_DEP_2)
	v_dual_add_f32 v159, v159, v198 :: v_dual_add_f32 v222, v156, v223
	v_mul_f32_e32 v223, 0xbeb58ec6, v206
	v_mul_f32_e32 v206, 0xbf788fa5, v206
	v_fma_f32 v198, 0x3df6dbef, v204, -v216
	v_fmamk_f32 v216, v204, 0xbeb58ec6, v218
	v_fma_f32 v218, 0xbeb58ec6, v204, -v218
	v_fmamk_f32 v225, v207, 0x3f6f5d39, v223
	v_fmac_f32_e32 v210, 0xbf52af12, v207
	v_fmac_f32_e32 v223, 0xbf6f5d39, v207
	v_fmamk_f32 v232, v207, 0x3e750f2a, v206
	v_mul_f32_e32 v226, 0xbf29c268, v205
	v_dual_mul_f32 v205, 0xbe750f2a, v205 :: v_dual_add_f32 v198, v156, v198
	v_add_f32_e32 v225, v157, v225
	v_add_f32_e32 v210, v157, v210
	s_delay_alu instid0(VALU_DEP_3)
	v_dual_add_f32 v223, v157, v223 :: v_dual_fmamk_f32 v230, v204, 0xbf788fa5, v205
	v_fma_f32 v155, 0xbf788fa5, v204, -v205
	v_fmamk_f32 v154, v233, 0x3f116cb1, v234
	v_dual_add_f32 v205, v157, v232 :: v_dual_fmamk_f32 v228, v204, 0xbf3f9e67, v226
	v_fma_f32 v226, 0xbf3f9e67, v204, -v226
	v_add_f32_e32 v216, v156, v216
	v_add_f32_e32 v230, v156, v230
	v_dual_mul_f32 v204, 0x3f116cb1, v149 :: v_dual_add_f32 v155, v156, v155
	v_dual_add_f32 v154, v154, v219 :: v_dual_mul_f32 v219, 0xbeb58ec6, v149
	v_add_f32_e32 v226, v156, v226
	v_fmac_f32_e32 v206, 0xbe750f2a, v207
	v_add_f32_e32 v228, v156, v228
	v_fma_f32 v207, 0x3f116cb1, v233, -v234
	v_add_f32_e32 v218, v156, v218
	s_delay_alu instid0(VALU_DEP_4) | instskip(SKIP_3) | instid1(VALU_DEP_4)
	v_dual_add_f32 v156, v157, v206 :: v_dual_fmamk_f32 v157, v148, 0x3f52af12, v204
	v_mul_f32_e32 v206, 0xbf6f5d39, v231
	v_fmac_f32_e32 v204, 0xbf52af12, v148
	v_dual_add_f32 v207, v207, v224 :: v_dual_mul_f32 v224, 0xbe750f2a, v231
	v_add_f32_e32 v157, v157, v220
	s_delay_alu instid0(VALU_DEP_4) | instskip(NEXT) | instid1(VALU_DEP_4)
	v_fmamk_f32 v220, v233, 0xbeb58ec6, v206
	v_add_f32_e32 v188, v204, v188
	v_fmamk_f32 v204, v148, 0x3f6f5d39, v219
	v_fma_f32 v206, 0xbeb58ec6, v233, -v206
	s_delay_alu instid0(VALU_DEP_4) | instskip(SKIP_1) | instid1(VALU_DEP_4)
	v_dual_fmac_f32 v219, 0xbf6f5d39, v148 :: v_dual_add_f32 v202, v220, v202
	v_fmamk_f32 v220, v233, 0xbf788fa5, v224
	v_add_f32_e32 v204, v204, v221
	s_delay_alu instid0(VALU_DEP_4) | instskip(NEXT) | instid1(VALU_DEP_4)
	v_dual_mul_f32 v221, 0xbf788fa5, v149 :: v_dual_add_f32 v206, v206, v208
	v_add_f32_e32 v208, v219, v210
	s_delay_alu instid0(VALU_DEP_4) | instskip(NEXT) | instid1(VALU_DEP_3)
	v_dual_mul_f32 v210, 0x3f29c268, v231 :: v_dual_add_f32 v219, v220, v222
	v_fmamk_f32 v220, v148, 0x3e750f2a, v221
	v_fmac_f32_e32 v221, 0xbe750f2a, v148
	v_fma_f32 v222, 0xbf788fa5, v233, -v224
	s_delay_alu instid0(VALU_DEP_3) | instskip(NEXT) | instid1(VALU_DEP_3)
	v_dual_add_f32 v197, v220, v197 :: v_dual_fmamk_f32 v224, v233, 0xbf3f9e67, v210
	v_add_f32_e32 v217, v221, v217
	s_delay_alu instid0(VALU_DEP_3) | instskip(SKIP_1) | instid1(VALU_DEP_4)
	v_dual_mul_f32 v221, 0x3f7e222b, v231 :: v_dual_add_f32 v198, v222, v198
	v_fma_f32 v210, 0xbf3f9e67, v233, -v210
	v_add_f32_e32 v216, v224, v216
	v_mul_f32_e32 v232, 0xbf3f9e67, v149
	s_delay_alu instid0(VALU_DEP_4) | instskip(SKIP_1) | instid1(VALU_DEP_1)
	v_fmamk_f32 v224, v233, 0x3df6dbef, v221
	v_fma_f32 v221, 0x3df6dbef, v233, -v221
	v_dual_add_f32 v221, v221, v226 :: v_dual_sub_f32 v226, v151, v153
	s_delay_alu instid0(VALU_DEP_4) | instskip(SKIP_3) | instid1(VALU_DEP_3)
	v_fmamk_f32 v220, v148, 0xbf29c268, v232
	v_dual_fmac_f32 v232, 0x3f29c268, v148 :: v_dual_add_f32 v151, v153, v151
	v_add_f32_e32 v210, v210, v218
	v_add_f32_e32 v224, v224, v228
	v_dual_add_f32 v223, v232, v223 :: v_dual_mul_f32 v222, 0x3df6dbef, v149
	v_mul_f32_e32 v149, 0x3f62ad3f, v149
	s_delay_alu instid0(VALU_DEP_2) | instskip(SKIP_1) | instid1(VALU_DEP_2)
	v_fmamk_f32 v218, v148, 0xbf7e222b, v222
	v_fmac_f32_e32 v222, 0x3f7e222b, v148
	v_dual_add_f32 v218, v218, v229 :: v_dual_add_f32 v229, v152, v150
	v_dual_add_f32 v220, v220, v225 :: v_dual_mul_f32 v225, 0x3eedf032, v231
	s_delay_alu instid0(VALU_DEP_3) | instskip(NEXT) | instid1(VALU_DEP_2)
	v_add_f32_e32 v222, v222, v227
	v_fmamk_f32 v228, v233, 0x3f62ad3f, v225
	v_fma_f32 v153, 0x3f62ad3f, v233, -v225
	v_mul_f32_e32 v225, 0xbf788fa5, v151
	s_delay_alu instid0(VALU_DEP_3) | instskip(NEXT) | instid1(VALU_DEP_3)
	v_add_f32_e32 v227, v228, v230
	v_dual_add_f32 v153, v153, v155 :: v_dual_fmamk_f32 v228, v148, 0xbeedf032, v149
	v_fmac_f32_e32 v149, 0x3eedf032, v148
	v_dual_sub_f32 v148, v150, v152 :: v_dual_mul_f32 v155, 0xbe750f2a, v226
	s_delay_alu instid0(VALU_DEP_3) | instskip(NEXT) | instid1(VALU_DEP_3)
	v_add_f32_e32 v205, v228, v205
	v_dual_add_f32 v149, v149, v156 :: v_dual_mul_f32 v230, 0xbf7e222b, v226
	v_mul_f32_e32 v228, 0x3f62ad3f, v151
	s_delay_alu instid0(VALU_DEP_2) | instskip(SKIP_1) | instid1(VALU_DEP_2)
	v_fma_f32 v156, 0x3df6dbef, v229, -v230
	v_fmamk_f32 v150, v229, 0x3df6dbef, v230
	v_add_f32_e32 v156, v156, v207
	v_mul_f32_e32 v152, 0x3df6dbef, v151
	s_delay_alu instid0(VALU_DEP_3) | instskip(SKIP_1) | instid1(VALU_DEP_3)
	v_add_f32_e32 v150, v150, v154
	v_mul_f32_e32 v207, 0x3f6f5d39, v226
	v_fmamk_f32 v154, v148, 0x3f7e222b, v152
	s_delay_alu instid0(VALU_DEP_1) | instskip(SKIP_1) | instid1(VALU_DEP_2)
	v_dual_add_f32 v154, v154, v157 :: v_dual_fmamk_f32 v157, v229, 0xbf788fa5, v155
	v_fma_f32 v155, 0xbf788fa5, v229, -v155
	v_add_f32_e32 v157, v157, v202
	s_delay_alu instid0(VALU_DEP_2) | instskip(SKIP_1) | instid1(VALU_DEP_2)
	v_dual_fmamk_f32 v202, v229, 0xbeb58ec6, v207 :: v_dual_add_f32 v155, v155, v206
	v_fma_f32 v207, 0xbeb58ec6, v229, -v207
	v_add_f32_e32 v202, v202, v219
	v_fmac_f32_e32 v152, 0xbf7e222b, v148
	s_delay_alu instid0(VALU_DEP_1) | instskip(SKIP_2) | instid1(VALU_DEP_2)
	v_add_f32_e32 v152, v152, v188
	v_fmamk_f32 v188, v148, 0x3e750f2a, v225
	v_fmac_f32_e32 v225, 0xbe750f2a, v148
	v_add_f32_e32 v188, v188, v204
	v_mul_f32_e32 v204, 0xbeb58ec6, v151
	s_delay_alu instid0(VALU_DEP_1) | instskip(SKIP_1) | instid1(VALU_DEP_2)
	v_dual_add_f32 v206, v225, v208 :: v_dual_fmamk_f32 v219, v148, 0xbf6f5d39, v204
	v_add_f32_e32 v198, v207, v198
	v_add_f32_e32 v197, v219, v197
	v_mul_f32_e32 v219, 0x3f116cb1, v151
	v_mul_f32_e32 v151, 0xbf3f9e67, v151
	;; [unrolled: 1-line block ×3, first 2 shown]
	s_delay_alu instid0(VALU_DEP_1) | instskip(SKIP_1) | instid1(VALU_DEP_1)
	v_fmamk_f32 v225, v229, 0x3f62ad3f, v208
	v_fma_f32 v208, 0x3f62ad3f, v229, -v208
	v_dual_add_f32 v207, v225, v216 :: v_dual_add_f32 v208, v208, v210
	v_fmamk_f32 v210, v148, 0x3f52af12, v219
	v_fmac_f32_e32 v219, 0xbf52af12, v148
	v_fmamk_f32 v216, v148, 0xbeedf032, v228
	v_mul_f32_e32 v225, 0xbf29c268, v226
	s_delay_alu instid0(VALU_DEP_4) | instskip(NEXT) | instid1(VALU_DEP_4)
	v_add_f32_e32 v210, v210, v218
	v_dual_add_f32 v219, v219, v222 :: v_dual_fmamk_f32 v222, v148, 0x3f29c268, v151
	s_delay_alu instid0(VALU_DEP_4) | instskip(SKIP_1) | instid1(VALU_DEP_3)
	v_add_f32_e32 v216, v216, v220
	v_fmac_f32_e32 v151, 0xbf29c268, v148
	v_dual_fmamk_f32 v218, v229, 0xbf3f9e67, v225 :: v_dual_add_f32 v205, v222, v205
	s_delay_alu instid0(VALU_DEP_2) | instskip(NEXT) | instid1(VALU_DEP_1)
	v_dual_fmac_f32 v204, 0x3f6f5d39, v148 :: v_dual_add_f32 v149, v151, v149
	v_dual_add_f32 v204, v204, v217 :: v_dual_mul_f32 v217, 0xbf52af12, v226
	s_delay_alu instid0(VALU_DEP_1) | instskip(SKIP_1) | instid1(VALU_DEP_1)
	v_fmamk_f32 v220, v229, 0x3f116cb1, v217
	v_fma_f32 v217, 0x3f116cb1, v229, -v217
	v_dual_add_f32 v220, v220, v224 :: v_dual_add_f32 v217, v217, v221
	v_dual_sub_f32 v221, v141, v147 :: v_dual_add_f32 v224, v146, v140
	v_add_f32_e32 v141, v147, v141
	v_fma_f32 v147, 0xbf3f9e67, v229, -v225
	v_sub_f32_e32 v140, v140, v146
	s_delay_alu instid0(VALU_DEP_4)
	v_mul_f32_e32 v226, 0xbf6f5d39, v221
	v_mul_f32_e32 v151, 0x3f29c268, v221
	;; [unrolled: 1-line block ×3, first 2 shown]
	v_add_f32_e32 v147, v147, v153
	v_mul_f32_e32 v222, 0xbf3f9e67, v141
	v_fma_f32 v153, 0xbeb58ec6, v224, -v226
	s_delay_alu instid0(VALU_DEP_1) | instskip(SKIP_2) | instid1(VALU_DEP_3)
	v_dual_fmamk_f32 v146, v224, 0xbeb58ec6, v226 :: v_dual_add_f32 v153, v153, v156
	v_fmac_f32_e32 v228, 0x3eedf032, v148
	v_mul_f32_e32 v148, 0xbeb58ec6, v141
	v_add_f32_e32 v146, v146, v150
	v_mul_f32_e32 v156, 0x3eedf032, v221
	s_delay_alu instid0(VALU_DEP_3) | instskip(SKIP_1) | instid1(VALU_DEP_2)
	v_fmamk_f32 v150, v140, 0x3f6f5d39, v148
	v_fmac_f32_e32 v148, 0xbf6f5d39, v140
	v_add_f32_e32 v150, v150, v154
	v_fmamk_f32 v154, v224, 0xbf3f9e67, v151
	s_delay_alu instid0(VALU_DEP_3)
	v_add_f32_e32 v148, v148, v152
	v_fmamk_f32 v152, v140, 0xbf29c268, v222
	v_fma_f32 v151, 0xbf3f9e67, v224, -v151
	v_fmac_f32_e32 v222, 0x3f29c268, v140
	v_dual_add_f32 v154, v154, v157 :: v_dual_fmamk_f32 v157, v224, 0x3f62ad3f, v156
	v_fma_f32 v156, 0x3f62ad3f, v224, -v156
	s_delay_alu instid0(VALU_DEP_4) | instskip(NEXT) | instid1(VALU_DEP_4)
	v_add_f32_e32 v151, v151, v155
	v_dual_add_f32 v155, v222, v206 :: v_dual_mul_f32 v206, 0xbf7e222b, v221
	s_delay_alu instid0(VALU_DEP_3) | instskip(NEXT) | instid1(VALU_DEP_2)
	v_add_f32_e32 v156, v156, v198
	v_fmamk_f32 v222, v224, 0x3df6dbef, v206
	v_fma_f32 v206, 0x3df6dbef, v224, -v206
	s_delay_alu instid0(VALU_DEP_2) | instskip(SKIP_2) | instid1(VALU_DEP_4)
	v_dual_add_f32 v198, v222, v207 :: v_dual_mul_f32 v207, 0xbf788fa5, v141
	v_add_f32_e32 v152, v152, v188
	v_mul_f32_e32 v188, 0x3f62ad3f, v141
	v_dual_add_f32 v206, v206, v208 :: v_dual_mul_f32 v141, 0x3f116cb1, v141
	s_delay_alu instid0(VALU_DEP_4) | instskip(SKIP_1) | instid1(VALU_DEP_4)
	v_fmamk_f32 v208, v140, 0xbe750f2a, v207
	v_fmac_f32_e32 v207, 0x3e750f2a, v140
	v_dual_add_f32 v157, v157, v202 :: v_dual_fmamk_f32 v202, v140, 0xbeedf032, v188
	v_fmac_f32_e32 v188, 0x3eedf032, v140
	s_delay_alu instid0(VALU_DEP_3) | instskip(SKIP_1) | instid1(VALU_DEP_3)
	v_dual_add_f32 v208, v208, v210 :: v_dual_add_f32 v207, v207, v219
	v_add_f32_e32 v219, v144, v142
	v_dual_add_f32 v197, v202, v197 :: v_dual_add_f32 v188, v188, v204
	v_fmamk_f32 v202, v140, 0x3f7e222b, v225
	v_mul_f32_e32 v204, 0x3e750f2a, v221
	v_dual_mul_f32 v221, 0x3f52af12, v221 :: v_dual_add_f32 v218, v218, v227
	v_fmac_f32_e32 v225, 0xbf7e222b, v140
	s_delay_alu instid0(VALU_DEP_4) | instskip(NEXT) | instid1(VALU_DEP_4)
	v_add_f32_e32 v202, v202, v216
	v_fmamk_f32 v216, v224, 0xbf788fa5, v204
	v_fma_f32 v204, 0xbf788fa5, v224, -v204
	v_fmamk_f32 v210, v224, 0x3f116cb1, v221
	s_delay_alu instid0(VALU_DEP_3) | instskip(NEXT) | instid1(VALU_DEP_3)
	v_add_f32_e32 v216, v216, v220
	v_add_f32_e32 v204, v204, v217
	v_sub_f32_e32 v217, v143, v145
	s_delay_alu instid0(VALU_DEP_4) | instskip(SKIP_2) | instid1(VALU_DEP_4)
	v_dual_add_f32 v143, v145, v143 :: v_dual_add_f32 v210, v210, v218
	v_fmamk_f32 v218, v140, 0xbf52af12, v141
	v_fma_f32 v145, 0x3f116cb1, v224, -v221
	v_mul_f32_e32 v220, 0xbf29c268, v217
	v_fmac_f32_e32 v141, 0x3f52af12, v140
	v_sub_f32_e32 v140, v142, v144
	v_dual_mul_f32 v144, 0xbf3f9e67, v143 :: v_dual_add_f32 v205, v218, v205
	s_delay_alu instid0(VALU_DEP_4) | instskip(NEXT) | instid1(VALU_DEP_4)
	v_dual_fmamk_f32 v142, v219, 0xbf3f9e67, v220 :: v_dual_add_f32 v145, v145, v147
	v_add_f32_e32 v141, v141, v149
	v_mul_f32_e32 v147, 0x3f7e222b, v217
	v_fma_f32 v149, 0xbf3f9e67, v219, -v220
	s_delay_alu instid0(VALU_DEP_4) | instskip(SKIP_2) | instid1(VALU_DEP_4)
	v_add_f32_e32 v142, v142, v146
	v_fmamk_f32 v146, v140, 0x3f29c268, v144
	v_fmac_f32_e32 v144, 0xbf29c268, v140
	v_dual_mul_f32 v218, 0x3df6dbef, v143 :: v_dual_add_f32 v149, v149, v153
	s_delay_alu instid0(VALU_DEP_3) | instskip(SKIP_1) | instid1(VALU_DEP_4)
	v_dual_mul_f32 v153, 0xbf52af12, v217 :: v_dual_add_f32 v146, v146, v150
	v_fmamk_f32 v150, v219, 0x3df6dbef, v147
	v_add_f32_e32 v144, v144, v148
	s_delay_alu instid0(VALU_DEP_4)
	v_fmamk_f32 v148, v140, 0xbf7e222b, v218
	v_fma_f32 v147, 0x3df6dbef, v219, -v147
	v_fmac_f32_e32 v218, 0x3f7e222b, v140
	v_add_f32_e32 v150, v150, v154
	v_mul_f32_e32 v154, 0x3f116cb1, v143
	v_add_f32_e32 v148, v148, v152
	v_fmamk_f32 v152, v219, 0x3f116cb1, v153
	v_add_f32_e32 v147, v147, v151
	v_add_f32_e32 v151, v218, v155
	v_mul_f32_e32 v155, 0x3e750f2a, v217
	v_fma_f32 v153, 0x3f116cb1, v219, -v153
	v_add_f32_e32 v152, v152, v157
	v_fmamk_f32 v157, v140, 0x3f52af12, v154
	v_fmac_f32_e32 v154, 0xbf52af12, v140
	v_fmamk_f32 v218, v219, 0xbf788fa5, v155
	v_dual_mul_f32 v220, 0xbf788fa5, v143 :: v_dual_add_f32 v153, v153, v156
	s_delay_alu instid0(VALU_DEP_3) | instskip(NEXT) | instid1(VALU_DEP_3)
	v_dual_add_f32 v157, v157, v197 :: v_dual_add_f32 v154, v154, v188
	v_add_f32_e32 v156, v218, v198
	s_delay_alu instid0(VALU_DEP_3)
	v_fmamk_f32 v188, v140, 0xbe750f2a, v220
	v_mul_f32_e32 v197, 0x3eedf032, v217
	v_fma_f32 v155, 0xbf788fa5, v219, -v155
	v_mul_f32_e32 v198, 0x3f62ad3f, v143
	v_add_f32_e32 v223, v228, v223
	v_add_f32_e32 v188, v188, v202
	v_fmamk_f32 v202, v219, 0x3f62ad3f, v197
	s_delay_alu instid0(VALU_DEP_4)
	v_dual_add_f32 v155, v155, v206 :: v_dual_fmamk_f32 v206, v140, 0xbeedf032, v198
	v_mul_f32_e32 v217, 0xbf6f5d39, v217
	v_fma_f32 v197, 0x3f62ad3f, v219, -v197
	v_fmac_f32_e32 v220, 0x3e750f2a, v140
	v_fmac_f32_e32 v198, 0x3eedf032, v140
	v_add_f32_e32 v206, v206, v208
	v_dual_fmamk_f32 v208, v219, 0xbeb58ec6, v217 :: v_dual_mul_f32 v143, 0xbeb58ec6, v143
	v_add_f32_e32 v197, v197, v204
	v_sub_f32_e32 v204, v137, v139
	v_add_f32_e32 v222, v225, v223
	v_add_f32_e32 v202, v202, v216
	v_dual_add_f32 v198, v198, v207 :: v_dual_add_f32 v207, v208, v210
	v_fmamk_f32 v208, v140, 0x3f6f5d39, v143
	s_delay_alu instid0(VALU_DEP_4) | instskip(SKIP_4) | instid1(VALU_DEP_3)
	v_add_f32_e32 v218, v220, v222
	v_add_f32_e32 v210, v138, v136
	v_mul_f32_e32 v216, 0xbe750f2a, v204
	v_dual_add_f32 v220, v139, v137 :: v_dual_fmac_f32 v143, 0xbf6f5d39, v140
	v_fma_f32 v137, 0xbeb58ec6, v219, -v217
	v_dual_sub_f32 v217, v136, v138 :: v_dual_fmamk_f32 v136, v210, 0xbf788fa5, v216
	s_delay_alu instid0(VALU_DEP_3) | instskip(NEXT) | instid1(VALU_DEP_4)
	v_mul_f32_e32 v139, 0xbf788fa5, v220
	v_add_f32_e32 v219, v143, v141
	v_mul_f32_e32 v143, 0x3f62ad3f, v220
	v_add_f32_e32 v205, v208, v205
	v_add_f32_e32 v208, v137, v145
	v_dual_add_f32 v136, v136, v142 :: v_dual_fmamk_f32 v137, v217, 0x3e750f2a, v139
	v_mul_f32_e32 v141, 0x3eedf032, v204
	v_fma_f32 v138, 0xbf788fa5, v210, -v216
	v_fmac_f32_e32 v139, 0xbe750f2a, v217
	v_fmamk_f32 v142, v217, 0xbeedf032, v143
	v_mul_f32_e32 v145, 0xbf29c268, v204
	v_dual_add_f32 v137, v137, v146 :: v_dual_fmamk_f32 v140, v210, 0x3f62ad3f, v141
	s_delay_alu instid0(VALU_DEP_4)
	v_dual_add_f32 v138, v138, v149 :: v_dual_add_f32 v139, v139, v144
	v_fma_f32 v144, 0x3f62ad3f, v210, -v141
	v_fmac_f32_e32 v143, 0x3eedf032, v217
	v_add_f32_e32 v141, v142, v148
	v_fmamk_f32 v146, v210, 0xbf3f9e67, v145
	v_mul_f32_e32 v148, 0xbf3f9e67, v220
	v_dual_mul_f32 v149, 0x3f52af12, v204 :: v_dual_add_f32 v140, v140, v150
	v_add_f32_e32 v142, v144, v147
	s_delay_alu instid0(VALU_DEP_4) | instskip(NEXT) | instid1(VALU_DEP_4)
	v_dual_add_f32 v143, v143, v151 :: v_dual_add_f32 v144, v146, v152
	v_fmamk_f32 v146, v217, 0x3f29c268, v148
	v_fma_f32 v147, 0xbf3f9e67, v210, -v145
	v_fmac_f32_e32 v148, 0xbf29c268, v217
	v_dual_fmamk_f32 v150, v210, 0x3f116cb1, v149 :: v_dual_mul_f32 v151, 0x3f116cb1, v220
	s_delay_alu instid0(VALU_DEP_4) | instskip(NEXT) | instid1(VALU_DEP_4)
	v_add_f32_e32 v145, v146, v157
	v_dual_mul_f32 v157, 0x3f7e222b, v204 :: v_dual_add_f32 v146, v147, v153
	s_delay_alu instid0(VALU_DEP_3) | instskip(NEXT) | instid1(VALU_DEP_4)
	v_dual_add_f32 v147, v148, v154 :: v_dual_add_f32 v148, v150, v156
	v_fmamk_f32 v150, v217, 0xbf52af12, v151
	v_mul_f32_e32 v152, 0xbf6f5d39, v204
	v_fma_f32 v153, 0x3f116cb1, v210, -v149
	v_mul_f32_e32 v156, 0xbeb58ec6, v220
	v_fma_f32 v204, 0x3df6dbef, v210, -v157
	v_add_f32_e32 v149, v150, v188
	v_fmamk_f32 v154, v210, 0xbeb58ec6, v152
	v_add_f32_e32 v150, v153, v155
	v_fma_f32 v155, 0xbeb58ec6, v210, -v152
	v_mul_f32_e32 v188, 0x3df6dbef, v220
	s_delay_alu instid0(VALU_DEP_4) | instskip(SKIP_1) | instid1(VALU_DEP_4)
	v_dual_fmamk_f32 v153, v217, 0x3f6f5d39, v156 :: v_dual_add_f32 v152, v154, v202
	v_fmac_f32_e32 v156, 0xbf6f5d39, v217
	v_dual_add_f32 v154, v155, v197 :: v_dual_fmamk_f32 v197, v210, 0x3df6dbef, v157
	s_delay_alu instid0(VALU_DEP_4)
	v_fmamk_f32 v202, v217, 0xbf7e222b, v188
	v_fmac_f32_e32 v188, 0x3f7e222b, v217
	v_fmac_f32_e32 v151, 0x3f52af12, v217
	v_add_f32_e32 v153, v153, v206
	v_dual_add_f32 v155, v156, v198 :: v_dual_add_f32 v156, v197, v207
	v_add_f32_e32 v157, v202, v205
	v_add_f32_e32 v197, v204, v208
	v_dual_add_f32 v198, v188, v219 :: v_dual_add_f32 v151, v151, v218
	ds_store_2addr_b64 v212, v[158:159], v[136:137] offset1:1
	ds_store_2addr_b64 v212, v[140:141], v[144:145] offset0:2 offset1:3
	ds_store_2addr_b64 v212, v[148:149], v[152:153] offset0:4 offset1:5
	;; [unrolled: 1-line block ×5, first 2 shown]
	ds_store_b64 v212, v[138:139] offset:96
	s_and_saveexec_b32 s0, vcc_lo
	s_cbranch_execz .LBB0_13
; %bb.12:
	v_dual_add_f32 v136, v119, v117 :: v_dual_add_f32 v137, v118, v116
	v_add_f32_e32 v139, v135, v121
	v_dual_sub_f32 v142, v123, v133 :: v_dual_add_f32 v141, v133, v123
	s_delay_alu instid0(VALU_DEP_3) | instskip(NEXT) | instid1(VALU_DEP_4)
	v_add_f32_e32 v138, v129, v136
	v_add_f32_e32 v140, v128, v137
	v_dual_sub_f32 v137, v120, v134 :: v_dual_sub_f32 v136, v122, v132
	s_delay_alu instid0(VALU_DEP_3) | instskip(NEXT) | instid1(VALU_DEP_3)
	v_dual_mul_f32 v230, 0x3df6dbef, v139 :: v_dual_add_f32 v143, v131, v138
	v_add_f32_e32 v144, v130, v140
	v_add_f32_e32 v138, v134, v120
	v_dual_sub_f32 v140, v121, v135 :: v_dual_add_f32 v145, v115, v129
	s_delay_alu instid0(VALU_DEP_3) | instskip(SKIP_2) | instid1(VALU_DEP_3)
	v_dual_add_f32 v143, v121, v143 :: v_dual_add_f32 v144, v120, v144
	v_sub_f32_e32 v121, v128, v114
	v_add_f32_e32 v120, v132, v122
	v_dual_mul_f32 v216, 0xbf6f5d39, v142 :: v_dual_add_f32 v123, v123, v143
	s_delay_alu instid0(VALU_DEP_4) | instskip(SKIP_2) | instid1(VALU_DEP_4)
	v_add_f32_e32 v143, v122, v144
	v_dual_sub_f32 v122, v130, v112 :: v_dual_sub_f32 v129, v129, v115
	v_dual_add_f32 v144, v113, v131 :: v_dual_sub_f32 v131, v131, v113
	v_dual_add_f32 v123, v125, v123 :: v_dual_add_f32 v128, v114, v128
	s_delay_alu instid0(VALU_DEP_3) | instskip(NEXT) | instid1(VALU_DEP_3)
	v_mul_f32_e32 v208, 0x3eedf032, v129
	v_mul_f32_e32 v220, 0x3f116cb1, v144
	s_delay_alu instid0(VALU_DEP_3) | instskip(SKIP_2) | instid1(VALU_DEP_3)
	v_dual_mul_f32 v212, 0x3f52af12, v140 :: v_dual_add_f32 v147, v127, v123
	v_dual_add_f32 v123, v112, v130 :: v_dual_sub_f32 v130, v118, v195
	v_add_f32_e32 v118, v195, v118
	v_dual_mul_f32 v222, 0x3f7e222b, v129 :: v_dual_add_f32 v133, v133, v147
	v_add_f32_e32 v146, v196, v119
	v_mul_f32_e32 v223, 0xbf52af12, v131
	v_mul_f32_e32 v231, 0x3f29c268, v129
	;; [unrolled: 1-line block ×3, first 2 shown]
	v_add_f32_e32 v133, v135, v133
	v_dual_add_f32 v143, v124, v143 :: v_dual_mul_f32 v148, 0xbf788fa5, v146
	v_mul_f32_e32 v135, 0x3f62ad3f, v146
	v_mul_f32_e32 v239, 0xbe750f2a, v129
	v_dual_mul_f32 v232, 0x3eedf032, v131 :: v_dual_mul_f32 v241, 0x3eedf032, v140
	s_delay_alu instid0(VALU_DEP_4) | instskip(SKIP_1) | instid1(VALU_DEP_2)
	v_dual_add_f32 v143, v126, v143 :: v_dual_mul_f32 v234, 0x3e750f2a, v142
	v_dual_mul_f32 v242, 0xbf52af12, v142 :: v_dual_mul_f32 v253, 0xbf52af12, v129
	v_dual_mul_f32 v247, 0xbf6f5d39, v129 :: v_dual_add_f32 v132, v132, v143
	v_mul_f32_e32 v143, 0xbf3f9e67, v146
	v_mul_f32_e32 v254, 0xbf7e222b, v131
	s_delay_alu instid0(VALU_DEP_4) | instskip(SKIP_4) | instid1(VALU_DEP_3)
	v_fmamk_f32 v129, v128, 0x3f116cb1, v253
	v_mul_f32_e32 v240, 0x3f6f5d39, v131
	v_dual_add_f32 v132, v134, v132 :: v_dual_mul_f32 v147, 0xbeb58ec6, v146
	v_dual_mul_f32 v134, 0x3f116cb1, v146 :: v_dual_add_f32 v113, v113, v133
	v_mul_f32_e32 v255, 0xbf6f5d39, v140
	v_dual_add_f32 v112, v112, v132 :: v_dual_mul_f32 v149, 0x3df6dbef, v146
	v_fmamk_f32 v146, v130, 0x3e750f2a, v148
	v_fmac_f32_e32 v148, 0xbe750f2a, v130
	v_dual_fmamk_f32 v132, v130, 0x3f29c268, v143 :: v_dual_add_f32 v113, v115, v113
	s_delay_alu instid0(VALU_DEP_4)
	v_add_f32_e32 v112, v114, v112
	v_dual_fmamk_f32 v114, v130, 0x3f7e222b, v149 :: v_dual_sub_f32 v115, v119, v196
	v_fmamk_f32 v133, v130, 0x3f6f5d39, v147
	v_fmac_f32_e32 v147, 0xbf6f5d39, v130
	v_dual_fmac_f32 v149, 0xbf7e222b, v130 :: v_dual_add_f32 v132, v117, v132
	v_fmamk_f32 v150, v130, 0x3eedf032, v135
	v_mul_f32_e32 v152, 0xbf6f5d39, v115
	v_mul_f32_e32 v153, 0xbf7e222b, v115
	s_delay_alu instid0(VALU_DEP_4) | instskip(SKIP_1) | instid1(VALU_DEP_4)
	v_dual_mul_f32 v154, 0xbf52af12, v115 :: v_dual_add_f32 v149, v117, v149
	v_fmac_f32_e32 v143, 0xbf29c268, v130
	v_fmamk_f32 v157, v118, 0xbeb58ec6, v152
	v_fma_f32 v152, 0xbeb58ec6, v118, -v152
	v_fmamk_f32 v158, v118, 0x3df6dbef, v153
	v_mul_f32_e32 v151, 0xbf29c268, v115
	v_fmamk_f32 v159, v118, 0x3f116cb1, v154
	s_delay_alu instid0(VALU_DEP_4) | instskip(NEXT) | instid1(VALU_DEP_4)
	v_dual_fmac_f32 v135, 0xbeedf032, v130 :: v_dual_add_f32 v152, v116, v152
	v_dual_fmamk_f32 v119, v130, 0x3f52af12, v134 :: v_dual_add_f32 v158, v116, v158
	s_delay_alu instid0(VALU_DEP_3) | instskip(SKIP_4) | instid1(VALU_DEP_3)
	v_dual_fmamk_f32 v156, v118, 0xbf3f9e67, v151 :: v_dual_add_f32 v159, v116, v159
	v_fmac_f32_e32 v134, 0xbf52af12, v130
	v_mul_f32_e32 v130, 0xbe750f2a, v115
	v_dual_mul_f32 v115, 0xbeedf032, v115 :: v_dual_add_f32 v148, v117, v148
	v_dual_sub_f32 v205, v124, v126 :: v_dual_add_f32 v112, v195, v112
	v_fmamk_f32 v155, v118, 0xbf788fa5, v130
	s_delay_alu instid0(VALU_DEP_3)
	v_fmamk_f32 v188, v118, 0x3f62ad3f, v115
	v_fma_f32 v115, 0x3f62ad3f, v118, -v115
	v_fma_f32 v130, 0xbf788fa5, v118, -v130
	v_mul_f32_e32 v195, 0x3f62ad3f, v145
	v_fma_f32 v151, 0xbf3f9e67, v118, -v151
	v_fma_f32 v153, 0x3df6dbef, v118, -v153
	v_add_f32_e32 v204, v116, v115
	v_fma_f32 v154, 0x3f116cb1, v118, -v154
	v_add_f32_e32 v118, v117, v146
	v_add_f32_e32 v198, v116, v130
	;; [unrolled: 1-line block ×4, first 2 shown]
	v_dual_add_f32 v156, v116, v157 :: v_dual_add_f32 v157, v117, v114
	v_dual_add_f32 v113, v196, v113 :: v_dual_fmamk_f32 v114, v121, 0xbeedf032, v195
	v_mul_f32_e32 v196, 0xbf3f9e67, v144
	v_dual_mul_f32 v207, 0x3f116cb1, v139 :: v_dual_add_f32 v188, v116, v188
	v_dual_add_f32 v151, v116, v151 :: v_dual_add_f32 v130, v127, v125
	s_delay_alu instid0(VALU_DEP_4) | instskip(NEXT) | instid1(VALU_DEP_4)
	v_add_f32_e32 v114, v114, v118
	v_fmamk_f32 v115, v122, 0x3f29c268, v196
	v_dual_add_f32 v147, v117, v147 :: v_dual_add_f32 v154, v116, v154
	v_add_f32_e32 v153, v116, v153
	s_delay_alu instid0(VALU_DEP_3)
	v_dual_add_f32 v133, v117, v133 :: v_dual_add_f32 v114, v115, v114
	v_fmamk_f32 v115, v137, 0xbf52af12, v207
	v_add_f32_e32 v197, v117, v119
	v_add_f32_e32 v150, v117, v150
	;; [unrolled: 1-line block ×4, first 2 shown]
	v_dual_add_f32 v114, v115, v114 :: v_dual_fmamk_f32 v115, v128, 0x3f62ad3f, v208
	v_dual_add_f32 v135, v117, v135 :: v_dual_add_f32 v206, v126, v124
	v_dual_fmamk_f32 v117, v122, 0x3f52af12, v220 :: v_dual_sub_f32 v134, v125, v127
	s_delay_alu instid0(VALU_DEP_3) | instskip(SKIP_1) | instid1(VALU_DEP_3)
	v_dual_add_f32 v115, v115, v146 :: v_dual_mul_f32 v146, 0xbf29c268, v131
	v_dual_mul_f32 v238, 0x3f62ad3f, v139 :: v_dual_mul_f32 v251, 0x3f62ad3f, v130
	v_mul_f32_e32 v218, 0x3f7e222b, v134
	v_mul_f32_e32 v224, 0x3e750f2a, v140
	s_delay_alu instid0(VALU_DEP_4)
	v_fmamk_f32 v116, v123, 0xbf3f9e67, v146
	v_mul_f32_e32 v217, 0x3df6dbef, v130
	v_mul_f32_e32 v225, 0x3eedf032, v142
	;; [unrolled: 1-line block ×4, first 2 shown]
	v_dual_add_f32 v115, v116, v115 :: v_dual_mul_f32 v210, 0xbeb58ec6, v141
	v_mul_f32_e32 v236, 0x3f52af12, v134
	v_dual_mul_f32 v246, 0xbf3f9e67, v139 :: v_dual_add_f32 v129, v129, v188
	v_mul_f32_e32 v219, 0x3df6dbef, v145
	s_delay_alu instid0(VALU_DEP_4) | instskip(SKIP_3) | instid1(VALU_DEP_4)
	v_fmamk_f32 v116, v136, 0x3f6f5d39, v210
	v_mul_f32_e32 v248, 0xbe750f2a, v131
	v_dual_fmamk_f32 v131, v123, 0x3df6dbef, v254 :: v_dual_mov_b32 v0, v201
	v_mul_f32_e32 v244, 0xbf29c268, v134
	v_add_f32_e32 v114, v116, v114
	v_fmamk_f32 v116, v138, 0x3f116cb1, v212
	v_dual_mul_f32 v252, 0x3eedf032, v134 :: v_dual_fmac_f32 v195, 0x3eedf032, v121
	v_mul_f32_e32 v221, 0xbf788fa5, v139
	s_delay_alu instid0(VALU_DEP_3) | instskip(SKIP_4) | instid1(VALU_DEP_4)
	v_dual_mul_f32 v250, 0x3f7e222b, v142 :: v_dual_add_f32 v115, v116, v115
	v_fmamk_f32 v116, v120, 0xbeb58ec6, v216
	v_fmac_f32_e32 v207, 0x3f52af12, v137
	v_mul_f32_e32 v235, 0x3f116cb1, v130
	v_mul_f32_e32 v237, 0xbf788fa5, v145
	v_dual_mul_f32 v229, 0x3f62ad3f, v144 :: v_dual_add_f32 v116, v116, v115
	v_fmamk_f32 v115, v205, 0xbf7e222b, v217
	v_mul_f32_e32 v233, 0xbf7e222b, v140
	v_add_f32_e32 v129, v131, v129
	s_delay_alu instid0(VALU_DEP_4)
	v_fmamk_f32 v119, v122, 0xbeedf032, v229
	v_fmac_f32_e32 v229, 0x3eedf032, v122
	v_dual_add_f32 v115, v115, v114 :: v_dual_fmamk_f32 v114, v206, 0x3df6dbef, v218
	v_mul_f32_e32 v243, 0xbf3f9e67, v130
	v_mul_f32_e32 v245, 0xbeb58ec6, v145
	v_dual_mov_b32 v201, v200 :: v_dual_mov_b32 v200, v211
	s_delay_alu instid0(VALU_DEP_4) | instskip(SKIP_3) | instid1(VALU_DEP_3)
	v_add_f32_e32 v114, v114, v116
	v_fmamk_f32 v116, v121, 0xbf7e222b, v219
	v_dual_fmamk_f32 v131, v138, 0xbeb58ec6, v255 :: v_dual_mov_b32 v2, v215
	v_mul_f32_e32 v215, 0xbe750f2a, v134
	v_dual_mov_b32 v211, v209 :: v_dual_add_f32 v116, v116, v132
	s_delay_alu instid0(VALU_DEP_3) | instskip(SKIP_2) | instid1(VALU_DEP_4)
	v_add_f32_e32 v129, v131, v129
	v_mul_f32_e32 v145, 0x3f116cb1, v145
	v_mov_b32_e32 v209, v213
	v_dual_mul_f32 v213, 0xbf29c268, v142 :: v_dual_add_f32 v116, v117, v116
	v_fmamk_f32 v117, v137, 0xbe750f2a, v221
	v_mul_f32_e32 v188, 0xbf3f9e67, v141
	v_mul_f32_e32 v249, 0x3f29c268, v140
	s_delay_alu instid0(VALU_DEP_4) | instskip(NEXT) | instid1(VALU_DEP_4)
	v_fmamk_f32 v131, v120, 0xbf3f9e67, v213
	v_dual_mov_b32 v1, v214 :: v_dual_add_f32 v116, v117, v116
	v_fmamk_f32 v117, v128, 0x3df6dbef, v222
	v_fmac_f32_e32 v217, 0x3f7e222b, v205
	s_delay_alu instid0(VALU_DEP_4)
	v_add_f32_e32 v129, v131, v129
	v_fmamk_f32 v131, v206, 0xbf788fa5, v215
	v_fmac_f32_e32 v219, 0x3f7e222b, v121
	v_add_f32_e32 v117, v117, v155
	v_mul_f32_e32 v155, 0x3f62ad3f, v141
	v_fmac_f32_e32 v221, 0x3e750f2a, v137
	v_add_f32_e32 v129, v131, v129
	s_delay_alu instid0(VALU_DEP_3) | instskip(SKIP_2) | instid1(VALU_DEP_3)
	v_dual_add_f32 v131, v195, v148 :: v_dual_fmamk_f32 v118, v136, 0xbeedf032, v155
	v_fmac_f32_e32 v155, 0x3eedf032, v136
	v_mul_f32_e32 v214, 0xbf788fa5, v130
	v_add_f32_e32 v116, v118, v116
	v_fmamk_f32 v118, v123, 0x3f116cb1, v223
	s_delay_alu instid0(VALU_DEP_1) | instskip(SKIP_1) | instid1(VALU_DEP_1)
	v_dual_fmamk_f32 v130, v205, 0x3e750f2a, v214 :: v_dual_add_f32 v117, v118, v117
	v_fmamk_f32 v118, v138, 0xbf788fa5, v224
	v_dual_add_f32 v117, v118, v117 :: v_dual_fmamk_f32 v118, v120, 0x3f62ad3f, v225
	s_delay_alu instid0(VALU_DEP_1) | instskip(NEXT) | instid1(VALU_DEP_1)
	v_dual_add_f32 v118, v118, v117 :: v_dual_fmamk_f32 v117, v205, 0x3f6f5d39, v226
	v_dual_add_f32 v117, v117, v116 :: v_dual_fmamk_f32 v116, v206, 0xbeb58ec6, v227
	v_fma_f32 v134, 0x3df6dbef, v206, -v218
	s_delay_alu instid0(VALU_DEP_2) | instskip(SKIP_1) | instid1(VALU_DEP_1)
	v_add_f32_e32 v116, v116, v118
	v_fmamk_f32 v118, v121, 0xbf29c268, v228
	v_add_f32_e32 v118, v118, v133
	s_delay_alu instid0(VALU_DEP_1) | instskip(NEXT) | instid1(VALU_DEP_1)
	v_dual_add_f32 v118, v119, v118 :: v_dual_fmamk_f32 v119, v137, 0x3f7e222b, v230
	v_dual_add_f32 v118, v119, v118 :: v_dual_fmamk_f32 v119, v128, 0xbf3f9e67, v231
	s_delay_alu instid0(VALU_DEP_1) | instskip(NEXT) | instid1(VALU_DEP_1)
	v_dual_add_f32 v119, v119, v156 :: v_dual_mul_f32 v156, 0xbf788fa5, v141
	v_fmamk_f32 v124, v136, 0xbe750f2a, v156
	s_delay_alu instid0(VALU_DEP_1) | instskip(SKIP_1) | instid1(VALU_DEP_1)
	v_add_f32_e32 v118, v124, v118
	v_fmamk_f32 v124, v123, 0x3f62ad3f, v232
	v_dual_add_f32 v119, v124, v119 :: v_dual_fmamk_f32 v124, v138, 0x3df6dbef, v233
	s_delay_alu instid0(VALU_DEP_1) | instskip(SKIP_1) | instid1(VALU_DEP_1)
	v_add_f32_e32 v119, v124, v119
	v_fmamk_f32 v124, v120, 0xbf788fa5, v234
	v_dual_add_f32 v124, v124, v119 :: v_dual_fmamk_f32 v119, v205, 0xbf52af12, v235
	v_fma_f32 v140, 0xbeb58ec6, v206, -v227
	v_fmac_f32_e32 v196, 0xbf29c268, v122
	v_fmac_f32_e32 v235, 0x3f52af12, v205
	s_delay_alu instid0(VALU_DEP_4) | instskip(NEXT) | instid1(VALU_DEP_1)
	v_dual_add_f32 v119, v119, v118 :: v_dual_fmamk_f32 v118, v206, 0x3f116cb1, v236
	v_dual_add_f32 v131, v196, v131 :: v_dual_add_f32 v118, v118, v124
	s_delay_alu instid0(VALU_DEP_1) | instskip(SKIP_1) | instid1(VALU_DEP_2)
	v_dual_fmamk_f32 v124, v121, 0x3e750f2a, v237 :: v_dual_add_f32 v131, v207, v131
	v_fmac_f32_e32 v237, 0xbe750f2a, v121
	v_dual_add_f32 v124, v124, v157 :: v_dual_mul_f32 v157, 0xbeb58ec6, v144
	s_delay_alu instid0(VALU_DEP_1) | instskip(NEXT) | instid1(VALU_DEP_1)
	v_dual_fmac_f32 v226, 0xbf6f5d39, v205 :: v_dual_fmamk_f32 v125, v122, 0xbf6f5d39, v157
	v_dual_fmac_f32 v157, 0x3f6f5d39, v122 :: v_dual_add_f32 v124, v125, v124
	v_fmamk_f32 v125, v137, 0xbeedf032, v238
	v_fmac_f32_e32 v238, 0x3eedf032, v137
	s_delay_alu instid0(VALU_DEP_2) | instskip(SKIP_2) | instid1(VALU_DEP_3)
	v_dual_add_f32 v124, v125, v124 :: v_dual_fmamk_f32 v125, v128, 0xbf788fa5, v239
	v_fmac_f32_e32 v156, 0x3e750f2a, v136
	v_fmac_f32_e32 v220, 0xbf52af12, v122
	v_dual_add_f32 v125, v125, v158 :: v_dual_mul_f32 v158, 0x3f116cb1, v141
	s_delay_alu instid0(VALU_DEP_1) | instskip(SKIP_1) | instid1(VALU_DEP_2)
	v_fmamk_f32 v126, v136, 0x3f52af12, v158
	v_fmac_f32_e32 v158, 0xbf52af12, v136
	v_add_f32_e32 v124, v126, v124
	v_fmamk_f32 v126, v123, 0xbeb58ec6, v240
	s_delay_alu instid0(VALU_DEP_1) | instskip(SKIP_1) | instid1(VALU_DEP_1)
	v_add_f32_e32 v125, v126, v125
	v_fmamk_f32 v126, v138, 0x3f62ad3f, v241
	v_dual_add_f32 v125, v126, v125 :: v_dual_fmamk_f32 v126, v120, 0x3f116cb1, v242
	s_delay_alu instid0(VALU_DEP_1) | instskip(SKIP_1) | instid1(VALU_DEP_2)
	v_dual_add_f32 v126, v126, v125 :: v_dual_fmamk_f32 v125, v205, 0x3f29c268, v243
	v_fmac_f32_e32 v243, 0xbf29c268, v205
	v_dual_add_f32 v125, v125, v124 :: v_dual_fmamk_f32 v124, v206, 0xbf3f9e67, v244
	s_delay_alu instid0(VALU_DEP_1) | instskip(SKIP_4) | instid1(VALU_DEP_4)
	v_add_f32_e32 v124, v124, v126
	v_fmamk_f32 v126, v121, 0x3f6f5d39, v245
	v_fmac_f32_e32 v245, 0xbf6f5d39, v121
	v_fmac_f32_e32 v230, 0xbf7e222b, v137
	;; [unrolled: 1-line block ×3, first 2 shown]
	v_dual_add_f32 v126, v126, v197 :: v_dual_mul_f32 v197, 0xbf788fa5, v144
	s_delay_alu instid0(VALU_DEP_2) | instskip(NEXT) | instid1(VALU_DEP_2)
	v_dual_mul_f32 v144, 0x3df6dbef, v144 :: v_dual_add_f32 v131, v210, v131
	v_fmamk_f32 v127, v122, 0x3e750f2a, v197
	s_delay_alu instid0(VALU_DEP_2) | instskip(SKIP_2) | instid1(VALU_DEP_4)
	v_fmamk_f32 v133, v122, 0x3f7e222b, v144
	v_fmac_f32_e32 v197, 0xbe750f2a, v122
	v_fmac_f32_e32 v144, 0xbf7e222b, v122
	v_dual_add_f32 v126, v127, v126 :: v_dual_fmamk_f32 v127, v137, 0xbf29c268, v246
	s_delay_alu instid0(VALU_DEP_1) | instskip(NEXT) | instid1(VALU_DEP_1)
	v_dual_add_f32 v126, v127, v126 :: v_dual_fmamk_f32 v127, v128, 0xbeb58ec6, v247
	v_add_f32_e32 v127, v127, v159
	v_mul_f32_e32 v159, 0x3df6dbef, v141
	v_fma_f32 v141, 0x3f62ad3f, v123, -v232
	s_delay_alu instid0(VALU_DEP_2) | instskip(SKIP_2) | instid1(VALU_DEP_3)
	v_fmamk_f32 v132, v136, 0xbf7e222b, v159
	v_fmac_f32_e32 v159, 0x3f7e222b, v136
	v_fmac_f32_e32 v246, 0x3f29c268, v137
	v_add_f32_e32 v126, v132, v126
	v_fmamk_f32 v132, v123, 0xbf788fa5, v248
	s_delay_alu instid0(VALU_DEP_1) | instskip(NEXT) | instid1(VALU_DEP_1)
	v_dual_add_f32 v127, v132, v127 :: v_dual_fmamk_f32 v132, v138, 0xbf3f9e67, v249
	v_add_f32_e32 v127, v132, v127
	v_fmamk_f32 v132, v120, 0x3df6dbef, v250
	v_fma_f32 v142, 0x3f116cb1, v206, -v236
	s_delay_alu instid0(VALU_DEP_2) | instskip(NEXT) | instid1(VALU_DEP_1)
	v_dual_add_f32 v132, v132, v127 :: v_dual_fmamk_f32 v127, v205, 0xbeedf032, v251
	v_dual_add_f32 v127, v127, v126 :: v_dual_fmamk_f32 v126, v206, 0x3f62ad3f, v252
	s_delay_alu instid0(VALU_DEP_1) | instskip(SKIP_1) | instid1(VALU_DEP_1)
	v_add_f32_e32 v126, v126, v132
	v_fmamk_f32 v132, v121, 0x3f52af12, v145
	v_dual_fmac_f32 v145, 0xbf52af12, v121 :: v_dual_add_f32 v132, v132, v150
	v_mul_f32_e32 v150, 0xbeb58ec6, v139
	v_fma_f32 v139, 0x3f116cb1, v123, -v223
	s_delay_alu instid0(VALU_DEP_3) | instskip(NEXT) | instid1(VALU_DEP_4)
	v_add_f32_e32 v135, v145, v135
	v_add_f32_e32 v132, v133, v132
	s_delay_alu instid0(VALU_DEP_4) | instskip(NEXT) | instid1(VALU_DEP_1)
	v_fmamk_f32 v133, v137, 0x3f6f5d39, v150
	v_dual_add_f32 v132, v133, v132 :: v_dual_fmamk_f32 v133, v136, 0x3f29c268, v188
	v_fmac_f32_e32 v188, 0xbf29c268, v136
	v_fma_f32 v136, 0xbf788fa5, v206, -v215
	s_delay_alu instid0(VALU_DEP_3)
	v_dual_mov_b32 v215, v2 :: v_dual_add_f32 v132, v133, v132
	v_fma_f32 v133, 0xbf3f9e67, v123, -v146
	v_fma_f32 v146, 0xbf3f9e67, v206, -v244
	v_fmac_f32_e32 v228, 0x3f29c268, v121
	v_fma_f32 v121, 0xbeb58ec6, v128, -v247
	v_add_f32_e32 v130, v130, v132
	v_fma_f32 v132, 0x3f62ad3f, v128, -v208
	s_delay_alu instid0(VALU_DEP_3) | instskip(NEXT) | instid1(VALU_DEP_2)
	v_add_f32_e32 v121, v121, v154
	v_add_f32_e32 v132, v132, v198
	s_delay_alu instid0(VALU_DEP_1) | instskip(SKIP_1) | instid1(VALU_DEP_1)
	v_add_f32_e32 v132, v133, v132
	v_fma_f32 v133, 0x3f116cb1, v138, -v212
	v_add_f32_e32 v132, v133, v132
	v_fma_f32 v133, 0xbeb58ec6, v120, -v216
	s_delay_alu instid0(VALU_DEP_1) | instskip(NEXT) | instid1(VALU_DEP_1)
	v_add_f32_e32 v133, v133, v132
	v_dual_add_f32 v132, v217, v131 :: v_dual_add_f32 v131, v134, v133
	v_fma_f32 v134, 0x3df6dbef, v128, -v222
	v_add_f32_e32 v133, v219, v143
	v_fma_f32 v143, 0xbeb58ec6, v123, -v240
	s_delay_alu instid0(VALU_DEP_2) | instskip(SKIP_1) | instid1(VALU_DEP_2)
	v_dual_add_f32 v134, v134, v151 :: v_dual_add_f32 v133, v220, v133
	v_fmac_f32_e32 v150, 0xbf6f5d39, v137
	v_add_f32_e32 v134, v139, v134
	v_fma_f32 v139, 0xbf788fa5, v138, -v224
	s_delay_alu instid0(VALU_DEP_1) | instskip(SKIP_1) | instid1(VALU_DEP_2)
	v_dual_add_f32 v133, v221, v133 :: v_dual_add_f32 v134, v139, v134
	v_fma_f32 v139, 0x3f62ad3f, v120, -v225
	v_add_f32_e32 v133, v155, v133
	s_delay_alu instid0(VALU_DEP_2) | instskip(NEXT) | instid1(VALU_DEP_1)
	v_dual_fmac_f32 v214, 0xbe750f2a, v205 :: v_dual_add_f32 v139, v139, v134
	v_dual_add_f32 v134, v226, v133 :: v_dual_add_f32 v133, v140, v139
	v_fma_f32 v140, 0xbf3f9e67, v128, -v231
	v_add_f32_e32 v139, v228, v147
	s_delay_alu instid0(VALU_DEP_1) | instskip(NEXT) | instid1(VALU_DEP_1)
	v_dual_add_f32 v140, v140, v152 :: v_dual_add_f32 v139, v229, v139
	v_add_f32_e32 v140, v141, v140
	v_fma_f32 v141, 0x3df6dbef, v138, -v233
	s_delay_alu instid0(VALU_DEP_1) | instskip(SKIP_1) | instid1(VALU_DEP_2)
	v_dual_add_f32 v139, v230, v139 :: v_dual_add_f32 v140, v141, v140
	v_fma_f32 v141, 0xbf788fa5, v120, -v234
	v_add_f32_e32 v139, v156, v139
	s_delay_alu instid0(VALU_DEP_1) | instskip(NEXT) | instid1(VALU_DEP_1)
	v_dual_add_f32 v141, v141, v140 :: v_dual_add_f32 v140, v235, v139
	v_add_f32_e32 v139, v142, v141
	v_add_f32_e32 v141, v237, v149
	v_fma_f32 v142, 0xbf788fa5, v128, -v239
	v_fma_f32 v128, 0x3f116cb1, v128, -v253
	s_delay_alu instid0(VALU_DEP_3) | instskip(NEXT) | instid1(VALU_DEP_3)
	v_add_f32_e32 v141, v157, v141
	v_add_f32_e32 v142, v142, v153
	s_delay_alu instid0(VALU_DEP_3) | instskip(SKIP_2) | instid1(VALU_DEP_4)
	v_add_f32_e32 v122, v128, v204
	v_fma_f32 v128, 0xbf788fa5, v123, -v248
	v_fma_f32 v123, 0x3df6dbef, v123, -v254
	v_dual_add_f32 v141, v238, v141 :: v_dual_add_f32 v142, v143, v142
	v_fma_f32 v143, 0x3f62ad3f, v138, -v241
	s_delay_alu instid0(VALU_DEP_3) | instskip(NEXT) | instid1(VALU_DEP_3)
	v_dual_add_f32 v121, v128, v121 :: v_dual_add_f32 v122, v123, v122
	v_dual_add_f32 v141, v158, v141 :: v_dual_add_f32 v128, v144, v135
	s_delay_alu instid0(VALU_DEP_3) | instskip(SKIP_3) | instid1(VALU_DEP_3)
	v_add_f32_e32 v142, v143, v142
	v_fma_f32 v143, 0x3f116cb1, v120, -v242
	v_fma_f32 v123, 0xbf3f9e67, v138, -v249
	;; [unrolled: 1-line block ×3, first 2 shown]
	v_add_f32_e32 v143, v143, v142
	v_add_f32_e32 v142, v243, v141
	s_delay_alu instid0(VALU_DEP_4) | instskip(NEXT) | instid1(VALU_DEP_4)
	v_add_f32_e32 v121, v123, v121
	v_dual_add_f32 v123, v150, v128 :: v_dual_add_f32 v122, v135, v122
	s_delay_alu instid0(VALU_DEP_4)
	v_add_f32_e32 v141, v146, v143
	v_add_f32_e32 v143, v245, v202
	v_fma_f32 v128, 0x3df6dbef, v120, -v250
	v_fma_f32 v120, 0xbf3f9e67, v120, -v213
	v_fmac_f32_e32 v251, 0x3eedf032, v205
	v_mov_b32_e32 v213, v209
	s_delay_alu instid0(VALU_DEP_4) | instskip(NEXT) | instid1(VALU_DEP_4)
	v_dual_add_f32 v143, v197, v143 :: v_dual_add_f32 v128, v128, v121
	v_add_f32_e32 v122, v120, v122
	scratch_load_b32 v120, off, off offset:48 ; 4-byte Folded Reload
	v_mov_b32_e32 v209, v211
	v_add_f32_e32 v143, v246, v143
	v_mov_b32_e32 v211, v200
	v_fma_f32 v135, 0x3f62ad3f, v206, -v252
	v_dual_add_f32 v123, v188, v123 :: v_dual_mov_b32 v200, v201
	s_delay_alu instid0(VALU_DEP_4) | instskip(NEXT) | instid1(VALU_DEP_1)
	v_dual_add_f32 v137, v159, v143 :: v_dual_add_f32 v122, v136, v122
	v_add_f32_e32 v121, v251, v137
	s_waitcnt vmcnt(0)
	v_lshl_add_u32 v138, v120, 3, v0
	v_dual_add_f32 v120, v135, v128 :: v_dual_add_f32 v123, v214, v123
	v_mov_b32_e32 v214, v1
	ds_store_2addr_b64 v138, v[112:113], v[129:130] offset1:1
	ds_store_2addr_b64 v138, v[126:127], v[124:125] offset0:2 offset1:3
	ds_store_2addr_b64 v138, v[118:119], v[116:117] offset0:4 offset1:5
	;; [unrolled: 1-line block ×5, first 2 shown]
	ds_store_b64 v138, v[122:123] offset:96
.LBB0_13:
	s_or_b32 exec_lo, exec_lo, s0
	v_add_nc_u32_e32 v127, 0x800, v199
	v_add_nc_u32_e32 v124, 0x1000, v199
	;; [unrolled: 1-line block ×3, first 2 shown]
	s_waitcnt lgkmcnt(0)
	s_barrier
	buffer_gl0_inv
	ds_load_2addr_b64 v[112:115], v127 offset0:4 offset1:69
	ds_load_2addr_b64 v[129:132], v124 offset0:138 offset1:203
	;; [unrolled: 1-line block ×3, first 2 shown]
	v_add_nc_u32_e32 v126, 0x2000, v199
	ds_load_2addr_b64 v[120:123], v199 offset1:65
	s_mov_b32 s2, 0x6615bd85
	s_mov_b32 s3, 0x3f442a38
	s_mul_hi_u32 s1, s4, 0x7d
	s_waitcnt lgkmcnt(2)
	v_dual_mul_f32 v159, v17, v115 :: v_dual_mul_f32 v188, v19, v130
	v_add_nc_u32_e32 v125, 0x2800, v199
	v_mul_f32_e32 v17, v17, v114
	v_mul_f32_e32 v19, v19, v129
	s_waitcnt lgkmcnt(1)
	v_dual_mul_f32 v201, v5, v136 :: v_dual_fmac_f32 v188, v18, v129
	ds_load_2addr_b64 v[116:119], v199 offset0:130 offset1:195
	ds_load_2addr_b64 v[137:140], v125 offset0:20 offset1:85
	ds_load_b64 v[157:158], v199 offset:12480
	ds_load_2addr_b64 v[141:144], v127 offset0:134 offset1:199
	ds_load_2addr_b64 v[145:148], v126 offset0:16 offset1:81
	;; [unrolled: 1-line block ×6, first 2 shown]
	scratch_load_b128 v[0:3], off, off offset:32 ; 16-byte Folded Reload
	v_mul_f32_e32 v5, v5, v135
	v_fma_f32 v18, v18, v130, -v19
	v_fmac_f32_e32 v201, v4, v135
	v_fma_f32 v17, v16, v115, -v17
	s_waitcnt vmcnt(0) lgkmcnt(0)
	v_fma_f32 v19, v4, v136, -v5
	s_barrier
	buffer_gl0_inv
	v_mul_f32_e32 v5, v7, v138
	v_dual_mul_f32 v4, v7, v137 :: v_dual_fmac_f32 v159, v16, v114
	v_mul_f32_e32 v114, v25, v142
	v_mul_f32_e32 v7, v25, v141
	;; [unrolled: 1-line block ×3, first 2 shown]
	v_fmac_f32_e32 v5, v6, v137
	v_fma_f32 v115, v6, v138, -v4
	v_mul_f32_e32 v4, v27, v131
	v_dual_mul_f32 v6, v21, v145 :: v_dual_mul_f32 v27, v23, v140
	v_fmac_f32_e32 v25, v26, v131
	v_mul_f32_e32 v135, v35, v154
	s_delay_alu instid0(VALU_DEP_4) | instskip(NEXT) | instid1(VALU_DEP_4)
	v_fma_f32 v26, v26, v132, -v4
	v_fma_f32 v130, v20, v146, -v6
	v_mul_f32_e32 v132, v37, v144
	v_mul_f32_e32 v4, v37, v143
	v_dual_fmac_f32 v27, v22, v139 :: v_dual_mul_f32 v6, v39, v149
	v_mul_f32_e32 v37, v39, v150
	s_delay_alu instid0(VALU_DEP_4)
	v_dual_mul_f32 v39, v33, v148 :: v_dual_fmac_f32 v132, v36, v143
	v_fma_f32 v129, v24, v142, -v7
	v_dual_mul_f32 v7, v23, v139 :: v_dual_mul_f32 v136, v29, v196
	v_fma_f32 v36, v36, v144, -v4
	v_dual_mul_f32 v4, v33, v147 :: v_dual_fmac_f32 v37, v38, v149
	v_fma_f32 v38, v38, v150, -v6
	s_delay_alu instid0(VALU_DEP_4) | instskip(SKIP_1) | instid1(VALU_DEP_4)
	v_fmac_f32_e32 v136, v28, v195
	v_mul_f32_e32 v6, v35, v153
	v_fma_f32 v35, v32, v148, -v4
	v_mul_f32_e32 v4, v31, v151
	v_fmac_f32_e32 v114, v24, v141
	v_fma_f32 v131, v22, v140, -v7
	v_fma_f32 v137, v34, v154, -v6
	v_dual_mul_f32 v6, v13, v216 :: v_dual_fmac_f32 v135, v34, v153
	v_dual_fmac_f32 v39, v32, v147 :: v_dual_mul_f32 v140, v13, v217
	v_mul_f32_e32 v7, v29, v195
	v_mul_f32_e32 v141, v15, v156
	v_fma_f32 v142, v30, v152, -v4
	v_mul_f32_e32 v4, v15, v155
	v_dual_mul_f32 v15, v11, v134 :: v_dual_fmac_f32 v140, v12, v216
	v_fma_f32 v138, v28, v196, -v7
	v_fma_f32 v143, v12, v217, -v6
	v_dual_mul_f32 v6, v9, v197 :: v_dual_fmac_f32 v141, v14, v155
	v_mul_f32_e32 v7, v11, v133
	v_fmac_f32_e32 v15, v10, v133
	v_fma_f32 v144, v14, v156, -v4
	v_dual_add_f32 v4, v188, v201 :: v_dual_mul_f32 v139, v31, v152
	v_mul_f32_e32 v16, v9, v198
	v_fma_f32 v12, v8, v198, -v6
	v_dual_mul_f32 v24, v21, v146 :: v_dual_add_f32 v11, v159, v5
	s_delay_alu instid0(VALU_DEP_3) | instskip(NEXT) | instid1(VALU_DEP_2)
	v_dual_fmac_f32 v139, v30, v151 :: v_dual_fmac_f32 v16, v8, v197
	v_dual_sub_f32 v23, v115, v19 :: v_dual_fmac_f32 v24, v20, v145
	v_add_f32_e32 v31, v26, v130
	v_add_f32_e32 v33, v132, v135
	s_delay_alu instid0(VALU_DEP_3)
	v_dual_sub_f32 v29, v27, v24 :: v_dual_mul_f32 v14, v1, v219
	v_mul_f32_e32 v6, v1, v218
	v_fma_f32 v13, v10, v134, -v7
	v_dual_mul_f32 v134, v3, v158 :: v_dual_add_f32 v7, v120, v159
	v_fma_f32 v1, -0.5, v4, v120
	v_dual_sub_f32 v9, v17, v115 :: v_dual_fmac_f32 v14, v0, v218
	v_fma_f32 v0, v0, v219, -v6
	s_delay_alu instid0(VALU_DEP_4) | instskip(NEXT) | instid1(VALU_DEP_3)
	v_dual_add_f32 v6, v7, v188 :: v_dual_sub_f32 v7, v18, v19
	v_fmamk_f32 v4, v9, 0xbf737871, v1
	v_dual_sub_f32 v8, v159, v188 :: v_dual_fmac_f32 v1, 0x3f737871, v9
	v_sub_f32_e32 v10, v5, v201
	s_delay_alu instid0(VALU_DEP_3)
	v_dual_mul_f32 v3, v3, v157 :: v_dual_fmac_f32 v4, 0xbf167918, v7
	v_add_f32_e32 v20, v6, v201
	v_fma_f32 v6, -0.5, v11, v120
	v_dual_fmac_f32 v1, 0x3f167918, v7 :: v_dual_fmac_f32 v134, v2, v157
	v_add_f32_e32 v21, v8, v10
	v_fma_f32 v3, v2, v158, -v3
	s_delay_alu instid0(VALU_DEP_4) | instskip(NEXT) | instid1(VALU_DEP_3)
	v_dual_fmamk_f32 v8, v7, 0x3f737871, v6 :: v_dual_sub_f32 v11, v201, v5
	v_dual_sub_f32 v2, v188, v159 :: v_dual_fmac_f32 v1, 0x3e9e377a, v21
	v_add_f32_e32 v10, v20, v5
	v_add_f32_e32 v20, v121, v17
	v_fmac_f32_e32 v4, 0x3e9e377a, v21
	v_dual_fmac_f32 v6, 0xbf737871, v7 :: v_dual_sub_f32 v21, v188, v201
	s_delay_alu instid0(VALU_DEP_3) | instskip(NEXT) | instid1(VALU_DEP_2)
	v_dual_fmac_f32 v8, 0xbf167918, v9 :: v_dual_add_f32 v7, v20, v18
	v_dual_add_f32 v11, v2, v11 :: v_dual_fmac_f32 v6, 0x3f167918, v9
	s_delay_alu instid0(VALU_DEP_2) | instskip(SKIP_1) | instid1(VALU_DEP_3)
	v_add_f32_e32 v9, v7, v19
	v_dual_sub_f32 v20, v159, v5 :: v_dual_add_f32 v7, v17, v115
	v_fmac_f32_e32 v8, 0x3e9e377a, v11
	s_delay_alu instid0(VALU_DEP_4) | instskip(NEXT) | instid1(VALU_DEP_4)
	v_fmac_f32_e32 v6, 0x3e9e377a, v11
	v_add_f32_e32 v11, v9, v115
	v_add_f32_e32 v22, v18, v19
	v_fma_f32 v7, -0.5, v7, v121
	s_delay_alu instid0(VALU_DEP_2) | instskip(NEXT) | instid1(VALU_DEP_2)
	v_fma_f32 v2, -0.5, v22, v121
	v_fmamk_f32 v9, v21, 0xbf737871, v7
	v_dual_fmac_f32 v7, 0x3f737871, v21 :: v_dual_add_f32 v30, v114, v27
	v_add_f32_e32 v121, v142, v143
	s_delay_alu instid0(VALU_DEP_4) | instskip(SKIP_2) | instid1(VALU_DEP_3)
	v_dual_fmamk_f32 v5, v20, 0x3f737871, v2 :: v_dual_sub_f32 v22, v17, v18
	v_dual_fmac_f32 v2, 0xbf737871, v20 :: v_dual_sub_f32 v17, v18, v17
	v_dual_sub_f32 v18, v19, v115 :: v_dual_fmac_f32 v9, 0x3f167918, v20
	v_dual_fmac_f32 v5, 0x3f167918, v21 :: v_dual_add_f32 v22, v22, v23
	v_add_f32_e32 v19, v25, v24
	s_delay_alu instid0(VALU_DEP_4) | instskip(NEXT) | instid1(VALU_DEP_4)
	v_dual_add_f32 v23, v122, v114 :: v_dual_fmac_f32 v2, 0xbf167918, v21
	v_add_f32_e32 v18, v17, v18
	v_sub_f32_e32 v28, v129, v131
	s_delay_alu instid0(VALU_DEP_4) | instskip(NEXT) | instid1(VALU_DEP_4)
	v_fma_f32 v17, -0.5, v19, v122
	v_dual_add_f32 v21, v23, v25 :: v_dual_fmac_f32 v2, 0x3e9e377a, v22
	v_fmac_f32_e32 v5, 0x3e9e377a, v22
	v_fmac_f32_e32 v9, 0x3e9e377a, v18
	s_delay_alu instid0(VALU_DEP_4)
	v_dual_fmamk_f32 v19, v28, 0xbf737871, v17 :: v_dual_sub_f32 v22, v26, v130
	v_sub_f32_e32 v23, v114, v25
	v_fmac_f32_e32 v7, 0xbf167918, v20
	v_add_f32_e32 v20, v21, v24
	v_fma_f32 v122, -0.5, v30, v122
	v_fmac_f32_e32 v19, 0xbf167918, v22
	v_add_f32_e32 v29, v23, v29
	v_dual_fmac_f32 v7, 0x3e9e377a, v18 :: v_dual_add_f32 v30, v123, v129
	v_dual_sub_f32 v18, v25, v114 :: v_dual_add_f32 v21, v20, v27
	v_dual_sub_f32 v20, v24, v27 :: v_dual_fmac_f32 v17, 0x3f737871, v28
	s_delay_alu instid0(VALU_DEP_4) | instskip(SKIP_1) | instid1(VALU_DEP_3)
	v_fmac_f32_e32 v19, 0x3e9e377a, v29
	v_add_f32_e32 v115, v38, v35
	v_add_f32_e32 v32, v18, v20
	;; [unrolled: 1-line block ×3, first 2 shown]
	v_fmamk_f32 v23, v22, 0x3f737871, v122
	v_fmac_f32_e32 v122, 0xbf737871, v22
	v_sub_f32_e32 v30, v114, v27
	v_add_f32_e32 v27, v129, v131
	v_fmac_f32_e32 v17, 0x3f167918, v22
	v_add_f32_e32 v22, v20, v130
	v_fmac_f32_e32 v122, 0x3f167918, v28
	v_fmac_f32_e32 v23, 0xbf167918, v28
	v_sub_f32_e32 v28, v25, v24
	v_sub_f32_e32 v24, v129, v26
	v_fma_f32 v18, -0.5, v31, v123
	v_sub_f32_e32 v25, v131, v130
	v_dual_fmac_f32 v17, 0x3e9e377a, v29 :: v_dual_fmac_f32 v122, 0x3e9e377a, v32
	v_dual_fmac_f32 v23, 0x3e9e377a, v32 :: v_dual_add_f32 v22, v22, v131
	s_delay_alu instid0(VALU_DEP_4) | instskip(NEXT) | instid1(VALU_DEP_4)
	v_dual_fmamk_f32 v20, v30, 0x3f737871, v18 :: v_dual_fmac_f32 v123, -0.5, v27
	v_dual_add_f32 v27, v24, v25 :: v_dual_fmac_f32 v18, 0xbf737871, v30
	s_delay_alu instid0(VALU_DEP_2) | instskip(NEXT) | instid1(VALU_DEP_3)
	v_dual_sub_f32 v25, v26, v129 :: v_dual_fmac_f32 v20, 0x3f167918, v28
	v_fmamk_f32 v24, v28, 0xbf737871, v123
	v_dual_sub_f32 v26, v130, v131 :: v_dual_add_f32 v31, v116, v132
	s_delay_alu instid0(VALU_DEP_4) | instskip(NEXT) | instid1(VALU_DEP_3)
	v_dual_add_f32 v29, v37, v39 :: v_dual_fmac_f32 v18, 0xbf167918, v28
	v_fmac_f32_e32 v24, 0x3f167918, v30
	s_delay_alu instid0(VALU_DEP_3) | instskip(NEXT) | instid1(VALU_DEP_3)
	v_dual_add_f32 v26, v25, v26 :: v_dual_fmac_f32 v123, 0x3f737871, v28
	v_fma_f32 v25, -0.5, v29, v116
	v_sub_f32_e32 v32, v36, v137
	v_dual_fmac_f32 v20, 0x3e9e377a, v27 :: v_dual_sub_f32 v29, v132, v37
	s_delay_alu instid0(VALU_DEP_4) | instskip(SKIP_1) | instid1(VALU_DEP_4)
	v_fmac_f32_e32 v123, 0xbf167918, v30
	v_fmac_f32_e32 v18, 0x3e9e377a, v27
	v_dual_add_f32 v28, v31, v37 :: v_dual_fmamk_f32 v27, v32, 0xbf737871, v25
	v_dual_sub_f32 v34, v38, v35 :: v_dual_fmac_f32 v25, 0x3f737871, v32
	v_dual_sub_f32 v31, v135, v39 :: v_dual_fmac_f32 v24, 0x3e9e377a, v26
	s_delay_alu instid0(VALU_DEP_2) | instskip(NEXT) | instid1(VALU_DEP_2)
	v_dual_add_f32 v28, v28, v39 :: v_dual_fmac_f32 v27, 0xbf167918, v34
	v_dual_fmac_f32 v123, 0x3e9e377a, v26 :: v_dual_add_f32 v30, v29, v31
	v_fma_f32 v29, -0.5, v33, v116
	s_delay_alu instid0(VALU_DEP_3) | instskip(SKIP_1) | instid1(VALU_DEP_3)
	v_dual_add_f32 v31, v28, v135 :: v_dual_sub_f32 v26, v37, v132
	v_dual_sub_f32 v28, v39, v135 :: v_dual_fmac_f32 v25, 0x3f167918, v34
	v_dual_add_f32 v114, v117, v36 :: v_dual_fmamk_f32 v33, v34, 0x3f737871, v29
	s_delay_alu instid0(VALU_DEP_2) | instskip(SKIP_1) | instid1(VALU_DEP_3)
	v_dual_fmac_f32 v27, 0x3e9e377a, v30 :: v_dual_add_f32 v116, v26, v28
	v_fmac_f32_e32 v29, 0xbf737871, v34
	v_dual_add_f32 v28, v114, v38 :: v_dual_fmac_f32 v33, 0xbf167918, v32
	v_dual_sub_f32 v114, v132, v135 :: v_dual_fmac_f32 v25, 0x3e9e377a, v30
	v_add_f32_e32 v30, v36, v137
	v_fma_f32 v26, -0.5, v115, v117
	s_delay_alu instid0(VALU_DEP_4) | instskip(SKIP_2) | instid1(VALU_DEP_4)
	v_fmac_f32_e32 v33, 0x3e9e377a, v116
	v_dual_fmac_f32 v29, 0x3f167918, v32 :: v_dual_sub_f32 v34, v36, v38
	v_add_f32_e32 v32, v28, v35
	v_dual_fmamk_f32 v28, v114, 0x3f737871, v26 :: v_dual_sub_f32 v37, v37, v39
	v_sub_f32_e32 v39, v137, v35
	v_fma_f32 v30, -0.5, v30, v117
	s_delay_alu instid0(VALU_DEP_4) | instskip(SKIP_1) | instid1(VALU_DEP_4)
	v_add_f32_e32 v32, v32, v137
	v_dual_fmac_f32 v26, 0xbf737871, v114 :: v_dual_sub_f32 v35, v35, v137
	v_dual_fmac_f32 v28, 0x3f167918, v37 :: v_dual_add_f32 v39, v34, v39
	s_delay_alu instid0(VALU_DEP_4)
	v_dual_fmamk_f32 v34, v37, 0xbf737871, v30 :: v_dual_add_f32 v115, v118, v136
	v_sub_f32_e32 v36, v38, v36
	v_add_f32_e32 v38, v139, v140
	v_dual_fmac_f32 v26, 0xbf167918, v37 :: v_dual_sub_f32 v117, v141, v140
	v_dual_fmac_f32 v29, 0x3e9e377a, v116 :: v_dual_fmac_f32 v28, 0x3e9e377a, v39
	v_sub_f32_e32 v116, v136, v139
	s_delay_alu instid0(VALU_DEP_3)
	v_fmac_f32_e32 v26, 0x3e9e377a, v39
	v_add_f32_e32 v39, v115, v139
	v_add_f32_e32 v36, v36, v35
	v_sub_f32_e32 v115, v142, v143
	v_fma_f32 v35, -0.5, v38, v118
	v_sub_f32_e32 v38, v138, v144
	v_fmac_f32_e32 v30, 0x3f737871, v37
	v_dual_fmac_f32 v34, 0x3f167918, v114 :: v_dual_add_f32 v39, v39, v140
	v_add_f32_e32 v117, v116, v117
	s_delay_alu instid0(VALU_DEP_4) | instskip(SKIP_2) | instid1(VALU_DEP_3)
	v_fmamk_f32 v37, v38, 0xbf737871, v35
	v_dual_sub_f32 v129, v138, v142 :: v_dual_sub_f32 v130, v144, v143
	v_dual_add_f32 v131, v15, v14 :: v_dual_sub_f32 v132, v12, v3
	v_fmac_f32_e32 v37, 0xbf167918, v115
	v_dual_fmac_f32 v35, 0x3f737871, v38 :: v_dual_add_f32 v120, v136, v141
	v_fmac_f32_e32 v30, 0xbf167918, v114
	s_delay_alu instid0(VALU_DEP_3) | instskip(NEXT) | instid1(VALU_DEP_3)
	v_dual_fmac_f32 v34, 0x3e9e377a, v36 :: v_dual_fmac_f32 v37, 0x3e9e377a, v117
	v_fmac_f32_e32 v35, 0x3f167918, v115
	s_delay_alu instid0(VALU_DEP_4)
	v_fma_f32 v118, -0.5, v120, v118
	v_add_f32_e32 v114, v39, v141
	v_dual_sub_f32 v39, v140, v141 :: v_dual_fmac_f32 v30, 0x3e9e377a, v36
	v_sub_f32_e32 v36, v139, v136
	v_dual_add_f32 v120, v119, v138 :: v_dual_fmac_f32 v35, 0x3e9e377a, v117
	v_dual_add_f32 v117, v138, v144 :: v_dual_fmamk_f32 v116, v115, 0x3f737871, v118
	s_delay_alu instid0(VALU_DEP_3) | instskip(NEXT) | instid1(VALU_DEP_3)
	v_add_f32_e32 v39, v36, v39
	v_dual_fmac_f32 v118, 0xbf737871, v115 :: v_dual_add_f32 v115, v120, v142
	v_fma_f32 v36, -0.5, v121, v119
	s_delay_alu instid0(VALU_DEP_4) | instskip(SKIP_1) | instid1(VALU_DEP_4)
	v_dual_fmac_f32 v116, 0xbf167918, v38 :: v_dual_sub_f32 v121, v136, v141
	v_sub_f32_e32 v120, v139, v140
	v_dual_add_f32 v115, v115, v143 :: v_dual_fmac_f32 v118, 0x3f167918, v38
	s_delay_alu instid0(VALU_DEP_3) | instskip(NEXT) | instid1(VALU_DEP_2)
	v_dual_fmac_f32 v116, 0x3e9e377a, v39 :: v_dual_fmac_f32 v119, -0.5, v117
	v_dual_fmamk_f32 v38, v121, 0x3f737871, v36 :: v_dual_add_f32 v115, v115, v144
	s_delay_alu instid0(VALU_DEP_3) | instskip(NEXT) | instid1(VALU_DEP_3)
	v_dual_fmac_f32 v118, 0x3e9e377a, v39 :: v_dual_add_f32 v39, v129, v130
	v_dual_fmac_f32 v36, 0xbf737871, v121 :: v_dual_fmamk_f32 v117, v120, 0xbf737871, v119
	v_sub_f32_e32 v129, v142, v138
	v_fmac_f32_e32 v119, 0x3f737871, v120
	v_sub_f32_e32 v130, v143, v144
	s_delay_alu instid0(VALU_DEP_4) | instskip(NEXT) | instid1(VALU_DEP_3)
	v_dual_fmac_f32 v38, 0x3f167918, v120 :: v_dual_fmac_f32 v117, 0x3f167918, v121
	v_dual_add_f32 v136, v113, v12 :: v_dual_fmac_f32 v119, 0xbf167918, v121
	s_delay_alu instid0(VALU_DEP_3) | instskip(SKIP_4) | instid1(VALU_DEP_4)
	v_dual_add_f32 v130, v129, v130 :: v_dual_add_f32 v129, v112, v16
	v_fmac_f32_e32 v36, 0xbf167918, v120
	v_fma_f32 v120, -0.5, v131, v112
	v_dual_fmac_f32 v38, 0x3e9e377a, v39 :: v_dual_sub_f32 v121, v13, v0
	v_sub_f32_e32 v131, v16, v15
	v_fmac_f32_e32 v36, 0x3e9e377a, v39
	v_add_f32_e32 v39, v129, v15
	v_fmamk_f32 v129, v132, 0xbf737871, v120
	v_dual_fmac_f32 v120, 0x3f737871, v132 :: v_dual_sub_f32 v133, v134, v14
	v_fmac_f32_e32 v117, 0x3e9e377a, v130
	v_fmac_f32_e32 v119, 0x3e9e377a, v130
	s_delay_alu instid0(VALU_DEP_4) | instskip(NEXT) | instid1(VALU_DEP_4)
	v_dual_fmac_f32 v129, 0xbf167918, v121 :: v_dual_sub_f32 v130, v15, v16
	v_fmac_f32_e32 v120, 0x3f167918, v121
	v_add_f32_e32 v133, v131, v133
	v_add_f32_e32 v135, v16, v134
	v_sub_f32_e32 v16, v16, v134
	s_delay_alu instid0(VALU_DEP_3) | instskip(NEXT) | instid1(VALU_DEP_3)
	v_fmac_f32_e32 v120, 0x3e9e377a, v133
	v_fma_f32 v112, -0.5, v135, v112
	v_add_f32_e32 v39, v39, v14
	v_fmac_f32_e32 v129, 0x3e9e377a, v133
	s_delay_alu instid0(VALU_DEP_3) | instskip(NEXT) | instid1(VALU_DEP_3)
	v_fmamk_f32 v133, v121, 0x3f737871, v112
	v_dual_fmac_f32 v112, 0xbf737871, v121 :: v_dual_add_f32 v131, v39, v134
	v_add_f32_e32 v39, v13, v0
	s_delay_alu instid0(VALU_DEP_2) | instskip(SKIP_1) | instid1(VALU_DEP_3)
	v_dual_fmac_f32 v112, 0x3f167918, v132 :: v_dual_sub_f32 v135, v14, v134
	v_add_f32_e32 v134, v12, v3
	v_fma_f32 v121, -0.5, v39, v113
	s_delay_alu instid0(VALU_DEP_3) | instskip(NEXT) | instid1(VALU_DEP_3)
	v_dual_sub_f32 v14, v15, v14 :: v_dual_add_f32 v39, v130, v135
	v_fmac_f32_e32 v113, -0.5, v134
	s_delay_alu instid0(VALU_DEP_3) | instskip(SKIP_2) | instid1(VALU_DEP_3)
	v_fmamk_f32 v130, v16, 0x3f737871, v121
	v_dual_fmac_f32 v133, 0xbf167918, v132 :: v_dual_add_f32 v132, v136, v13
	v_fmac_f32_e32 v121, 0xbf737871, v16
	v_fmac_f32_e32 v130, 0x3f167918, v14
	s_delay_alu instid0(VALU_DEP_3)
	v_fmac_f32_e32 v133, 0x3e9e377a, v39
	v_dual_fmac_f32 v112, 0x3e9e377a, v39 :: v_dual_sub_f32 v39, v12, v13
	v_sub_f32_e32 v12, v13, v12
	v_dual_add_f32 v15, v132, v0 :: v_dual_fmamk_f32 v134, v14, 0xbf737871, v113
	v_sub_f32_e32 v132, v3, v0
	v_dual_sub_f32 v0, v0, v3 :: v_dual_fmac_f32 v113, 0x3f737871, v14
	v_fmac_f32_e32 v121, 0xbf167918, v14
	s_delay_alu instid0(VALU_DEP_4) | instskip(NEXT) | instid1(VALU_DEP_4)
	v_fmac_f32_e32 v134, 0x3f167918, v16
	v_add_f32_e32 v13, v39, v132
	s_delay_alu instid0(VALU_DEP_4) | instskip(SKIP_1) | instid1(VALU_DEP_3)
	v_add_f32_e32 v0, v12, v0
	v_dual_fmac_f32 v113, 0xbf167918, v16 :: v_dual_add_f32 v132, v15, v3
	v_fmac_f32_e32 v130, 0x3e9e377a, v13
	s_delay_alu instid0(VALU_DEP_3) | instskip(NEXT) | instid1(VALU_DEP_3)
	v_dual_fmac_f32 v121, 0x3e9e377a, v13 :: v_dual_fmac_f32 v134, 0x3e9e377a, v0
	v_fmac_f32_e32 v113, 0x3e9e377a, v0
	scratch_load_b32 v0, off, off offset:12 ; 4-byte Folded Reload
	s_waitcnt vmcnt(0)
	ds_store_2addr_b64 v0, v[10:11], v[4:5] offset1:13
	ds_store_2addr_b64 v0, v[8:9], v[6:7] offset0:26 offset1:39
	ds_store_b64 v0, v[1:2] offset:416
	scratch_load_b32 v0, off, off offset:8  ; 4-byte Folded Reload
	s_waitcnt vmcnt(0)
	ds_store_2addr_b64 v0, v[21:22], v[19:20] offset1:13
	ds_store_2addr_b64 v0, v[23:24], v[122:123] offset0:26 offset1:39
	ds_store_b64 v0, v[17:18] offset:416
	scratch_load_b32 v0, off, off offset:24 ; 4-byte Folded Reload
	s_waitcnt vmcnt(0)
	ds_store_2addr_b64 v0, v[31:32], v[27:28] offset1:13
	ds_store_2addr_b64 v0, v[33:34], v[29:30] offset0:26 offset1:39
	ds_store_b64 v0, v[25:26] offset:416
	scratch_load_b32 v0, off, off offset:20 ; 4-byte Folded Reload
	;; [unrolled: 5-line block ×3, first 2 shown]
	s_waitcnt vmcnt(0)
	ds_store_2addr_b64 v0, v[131:132], v[129:130] offset1:13
	ds_store_2addr_b64 v0, v[133:134], v[112:113] offset0:26 offset1:39
	ds_store_b64 v0, v[120:121] offset:416
	s_waitcnt lgkmcnt(0)
	s_barrier
	buffer_gl0_inv
	ds_load_2addr_b64 v[0:3], v127 offset0:4 offset1:69
	ds_load_2addr_b64 v[12:15], v124 offset0:138 offset1:203
	;; [unrolled: 1-line block ×3, first 2 shown]
	ds_load_2addr_b64 v[8:11], v199 offset1:65
	ds_load_2addr_b64 v[20:23], v125 offset0:20 offset1:85
	ds_load_2addr_b64 v[24:27], v127 offset0:134 offset1:199
	;; [unrolled: 1-line block ×8, first 2 shown]
	ds_load_b64 v[120:121], v199 offset:12480
	s_waitcnt lgkmcnt(0)
	s_barrier
	buffer_gl0_inv
	v_dual_mul_f32 v122, v73, v3 :: v_dual_mul_f32 v123, v75, v13
	v_mul_f32_e32 v131, v69, v18
	v_dual_mul_f32 v129, v75, v12 :: v_dual_mul_f32 v130, v69, v19
	s_delay_alu instid0(VALU_DEP_3) | instskip(SKIP_2) | instid1(VALU_DEP_4)
	v_fmac_f32_e32 v122, v72, v2
	v_mul_f32_e32 v2, v73, v2
	v_mul_f32_e32 v133, v73, v25
	v_dual_fmac_f32 v123, v74, v12 :: v_dual_fmac_f32 v130, v68, v18
	v_mul_f32_e32 v12, v71, v22
	s_delay_alu instid0(VALU_DEP_4)
	v_fma_f32 v132, v72, v3, -v2
	v_mul_f32_e32 v2, v71, v20
	v_mul_f32_e32 v3, v73, v24
	;; [unrolled: 1-line block ×3, first 2 shown]
	v_fma_f32 v129, v74, v13, -v129
	v_fma_f32 v131, v68, v19, -v131
	;; [unrolled: 1-line block ×3, first 2 shown]
	v_dual_mul_f32 v2, v75, v14 :: v_dual_fmac_f32 v133, v72, v24
	v_fma_f32 v72, v72, v25, -v3
	v_mul_f32_e32 v75, v69, v29
	v_mul_f32_e32 v3, v69, v28
	;; [unrolled: 1-line block ×4, first 2 shown]
	v_fma_f32 v71, v74, v15, -v2
	v_fmac_f32_e32 v75, v68, v28
	v_fma_f32 v68, v68, v29, -v3
	v_mul_f32_e32 v2, v61, v26
	v_dual_fmac_f32 v73, v74, v14 :: v_dual_mul_f32 v74, v61, v27
	v_mul_f32_e32 v61, v63, v33
	v_mul_f32_e32 v3, v63, v32
	v_fmac_f32_e32 v13, v70, v20
	s_delay_alu instid0(VALU_DEP_4)
	v_dual_mul_f32 v63, v57, v31 :: v_dual_fmac_f32 v74, v60, v26
	v_fma_f32 v60, v60, v27, -v2
	v_fmac_f32_e32 v61, v62, v32
	v_fma_f32 v62, v62, v33, -v3
	v_dual_mul_f32 v2, v57, v30 :: v_dual_mul_f32 v3, v59, v36
	v_sub_f32_e32 v14, v122, v123
	v_dual_fmac_f32 v69, v70, v22 :: v_dual_mul_f32 v20, v51, v17
	v_fma_f32 v70, v70, v23, -v12
	v_fmac_f32_e32 v63, v56, v30
	v_mul_f32_e32 v57, v59, v37
	v_mul_f32_e32 v59, v53, v113
	;; [unrolled: 1-line block ×3, first 2 shown]
	v_fma_f32 v53, v56, v31, -v2
	v_fma_f32 v56, v58, v37, -v3
	v_dual_mul_f32 v3, v45, v116 :: v_dual_add_f32 v24, v122, v13
	v_dual_sub_f32 v15, v132, v134 :: v_dual_add_f32 v28, v129, v131
	v_fmac_f32_e32 v59, v52, v112
	v_fma_f32 v52, v52, v113, -v12
	s_delay_alu instid0(VALU_DEP_4) | instskip(SKIP_4) | instid1(VALU_DEP_4)
	v_fma_f32 v113, v44, v117, -v3
	v_dual_mul_f32 v3, v49, v114 :: v_dual_mul_f32 v12, v51, v16
	v_mul_f32_e32 v2, v55, v34
	v_fmac_f32_e32 v20, v50, v16
	v_dual_fmac_f32 v57, v58, v36 :: v_dual_mul_f32 v58, v55, v35
	v_fma_f32 v18, v48, v115, -v3
	v_fma_f32 v19, v50, v17, -v12
	v_dual_add_f32 v12, v8, v122 :: v_dual_sub_f32 v17, v129, v131
	v_mul_f32_e32 v3, v41, v118
	v_fmac_f32_e32 v58, v54, v34
	v_fma_f32 v54, v54, v35, -v2
	v_mul_f32_e32 v2, v47, v38
	v_sub_f32_e32 v16, v13, v130
	v_fma_f32 v22, v40, v119, -v3
	v_add_f32_e32 v3, v12, v123
	v_dual_mul_f32 v55, v45, v117 :: v_dual_mul_f32 v112, v47, v39
	s_delay_alu instid0(VALU_DEP_4) | instskip(SKIP_1) | instid1(VALU_DEP_4)
	v_add_f32_e32 v26, v14, v16
	v_add_f32_e32 v27, v9, v132
	;; [unrolled: 1-line block ×3, first 2 shown]
	v_mul_f32_e32 v21, v49, v115
	v_fma_f32 v49, v46, v39, -v2
	v_add_f32_e32 v2, v123, v130
	v_add_f32_e32 v30, v73, v75
	;; [unrolled: 1-line block ×3, first 2 shown]
	v_sub_f32_e32 v3, v123, v122
	v_sub_f32_e32 v32, v71, v68
	v_fma_f32 v2, -0.5, v2, v8
	v_fma_f32 v8, -0.5, v24, v8
	v_mul_f32_e32 v25, v43, v120
	v_add_f32_e32 v31, v10, v133
	v_add_f32_e32 v34, v133, v69
	v_fmamk_f32 v12, v15, 0xbf737871, v2
	v_fmac_f32_e32 v2, 0x3f737871, v15
	v_fma_f32 v24, v42, v121, -v25
	v_dual_sub_f32 v25, v130, v13 :: v_dual_sub_f32 v36, v72, v71
	v_sub_f32_e32 v37, v70, v68
	v_add_f32_e32 v39, v4, v74
	s_delay_alu instid0(VALU_DEP_3)
	v_dual_fmac_f32 v112, v46, v38 :: v_dual_add_f32 v25, v3, v25
	v_fma_f32 v3, -0.5, v28, v9
	v_dual_sub_f32 v28, v122, v13 :: v_dual_fmac_f32 v55, v44, v116
	v_dual_fmac_f32 v12, 0xbf167918, v17 :: v_dual_fmac_f32 v21, v48, v114
	v_fmamk_f32 v14, v17, 0x3f737871, v8
	v_dual_mul_f32 v23, v41, v119 :: v_dual_fmac_f32 v2, 0x3f167918, v17
	s_delay_alu instid0(VALU_DEP_3) | instskip(SKIP_1) | instid1(VALU_DEP_3)
	v_fmac_f32_e32 v12, 0x3e9e377a, v26
	v_fmac_f32_e32 v8, 0xbf737871, v17
	v_dual_fmac_f32 v14, 0xbf167918, v15 :: v_dual_fmac_f32 v23, v40, v118
	s_delay_alu instid0(VALU_DEP_4) | instskip(SKIP_1) | instid1(VALU_DEP_4)
	v_fmac_f32_e32 v2, 0x3e9e377a, v26
	v_sub_f32_e32 v26, v123, v130
	v_dual_add_f32 v17, v27, v129 :: v_dual_fmac_f32 v8, 0x3f167918, v15
	v_sub_f32_e32 v27, v132, v129
	v_dual_sub_f32 v29, v134, v131 :: v_dual_fmac_f32 v14, 0x3e9e377a, v25
	v_fmamk_f32 v13, v28, 0x3f737871, v3
	s_delay_alu instid0(VALU_DEP_4) | instskip(NEXT) | instid1(VALU_DEP_3)
	v_dual_fmac_f32 v8, 0x3e9e377a, v25 :: v_dual_sub_f32 v25, v129, v132
	v_add_f32_e32 v27, v27, v29
	v_dual_sub_f32 v29, v131, v134 :: v_dual_add_f32 v36, v36, v37
	v_sub_f32_e32 v33, v69, v75
	v_dual_fmac_f32 v13, 0x3f167918, v26 :: v_dual_mul_f32 v114, v43, v121
	s_delay_alu instid0(VALU_DEP_3)
	v_add_f32_e32 v29, v25, v29
	v_fma_f32 v25, -0.5, v30, v10
	v_dual_sub_f32 v30, v72, v70 :: v_dual_add_f32 v15, v17, v131
	v_add_f32_e32 v17, v132, v134
	v_fma_f32 v10, -0.5, v34, v10
	v_add_f32_e32 v34, v11, v72
	v_dual_fmac_f32 v3, 0xbf737871, v28 :: v_dual_add_f32 v38, v61, v63
	s_delay_alu instid0(VALU_DEP_4) | instskip(SKIP_1) | instid1(VALU_DEP_3)
	v_fma_f32 v9, -0.5, v17, v9
	v_dual_add_f32 v17, v15, v134 :: v_dual_sub_f32 v40, v62, v53
	v_fmac_f32_e32 v3, 0xbf167918, v26
	v_sub_f32_e32 v41, v57, v63
	s_delay_alu instid0(VALU_DEP_4) | instskip(SKIP_2) | instid1(VALU_DEP_3)
	v_fmamk_f32 v15, v26, 0xbf737871, v9
	v_dual_fmac_f32 v9, 0x3f737871, v26 :: v_dual_add_f32 v26, v31, v73
	v_dual_sub_f32 v31, v133, v73 :: v_dual_fmac_f32 v114, v42, v120
	v_fmac_f32_e32 v15, 0x3f167918, v28
	s_delay_alu instid0(VALU_DEP_3) | instskip(NEXT) | instid1(VALU_DEP_3)
	v_dual_fmac_f32 v9, 0xbf167918, v28 :: v_dual_add_f32 v26, v26, v75
	v_dual_add_f32 v28, v31, v33 :: v_dual_fmamk_f32 v31, v32, 0x3f737871, v10
	v_fmac_f32_e32 v10, 0xbf737871, v32
	v_fmac_f32_e32 v13, 0x3e9e377a, v27
	s_delay_alu instid0(VALU_DEP_4)
	v_fmac_f32_e32 v9, 0x3e9e377a, v29
	v_sub_f32_e32 v33, v75, v69
	v_fmac_f32_e32 v31, 0xbf167918, v30
	v_fmac_f32_e32 v10, 0x3f167918, v30
	;; [unrolled: 1-line block ×3, first 2 shown]
	v_fmamk_f32 v27, v30, 0xbf737871, v25
	v_fmac_f32_e32 v25, 0x3f737871, v30
	v_add_f32_e32 v35, v71, v68
	v_dual_sub_f32 v37, v68, v70 :: v_dual_add_f32 v42, v74, v57
	s_delay_alu instid0(VALU_DEP_4) | instskip(NEXT) | instid1(VALU_DEP_4)
	v_fmac_f32_e32 v27, 0xbf167918, v32
	v_dual_fmac_f32 v25, 0x3f167918, v32 :: v_dual_add_f32 v32, v34, v71
	v_sub_f32_e32 v34, v133, v69
	v_sub_f32_e32 v44, v60, v62
	;; [unrolled: 1-line block ×3, first 2 shown]
	s_delay_alu instid0(VALU_DEP_4)
	v_dual_add_f32 v47, v6, v59 :: v_dual_add_f32 v30, v32, v68
	v_dual_add_f32 v32, v72, v70 :: v_dual_fmac_f32 v15, 0x3e9e377a, v29
	v_add_f32_e32 v29, v26, v69
	v_sub_f32_e32 v26, v73, v133
	v_add_f32_e32 v44, v44, v45
	v_add_f32_e32 v43, v62, v53
	v_dual_add_f32 v46, v58, v55 :: v_dual_sub_f32 v45, v53, v56
	s_delay_alu instid0(VALU_DEP_4) | instskip(SKIP_3) | instid1(VALU_DEP_4)
	v_add_f32_e32 v33, v26, v33
	v_fma_f32 v26, -0.5, v35, v11
	v_dual_fmac_f32 v11, -0.5, v32 :: v_dual_sub_f32 v50, v112, v55
	v_sub_f32_e32 v48, v54, v113
	v_fmac_f32_e32 v31, 0x3e9e377a, v33
	v_dual_fmac_f32 v10, 0x3e9e377a, v33 :: v_dual_sub_f32 v33, v71, v72
	v_dual_add_f32 v30, v30, v70 :: v_dual_add_f32 v51, v59, v112
	s_delay_alu instid0(VALU_DEP_2)
	v_add_f32_e32 v37, v33, v37
	v_fma_f32 v33, -0.5, v38, v4
	v_fma_f32 v4, -0.5, v42, v4
	v_sub_f32_e32 v35, v73, v75
	v_add_f32_e32 v42, v5, v60
	v_fmac_f32_e32 v25, 0x3e9e377a, v28
	v_sub_f32_e32 v38, v60, v56
	s_delay_alu instid0(VALU_DEP_4) | instskip(SKIP_1) | instid1(VALU_DEP_2)
	v_fmamk_f32 v32, v35, 0xbf737871, v11
	v_fmac_f32_e32 v11, 0x3f737871, v35
	v_fmac_f32_e32 v32, 0x3f167918, v34
	;; [unrolled: 1-line block ×3, first 2 shown]
	v_fmamk_f32 v28, v34, 0x3f737871, v26
	v_fmac_f32_e32 v26, 0xbf737871, v34
	v_fmac_f32_e32 v11, 0xbf167918, v34
	s_delay_alu instid0(VALU_DEP_3) | instskip(NEXT) | instid1(VALU_DEP_3)
	v_fmac_f32_e32 v28, 0x3f167918, v35
	v_fmac_f32_e32 v26, 0xbf167918, v35
	v_fmamk_f32 v35, v38, 0xbf737871, v33
	v_fmac_f32_e32 v33, 0x3f737871, v38
	s_delay_alu instid0(VALU_DEP_4) | instskip(NEXT) | instid1(VALU_DEP_4)
	v_fmac_f32_e32 v28, 0x3e9e377a, v36
	v_fmac_f32_e32 v26, 0x3e9e377a, v36
	v_add_f32_e32 v36, v39, v61
	v_sub_f32_e32 v39, v74, v61
	v_fmac_f32_e32 v35, 0xbf167918, v40
	s_delay_alu instid0(VALU_DEP_3) | instskip(NEXT) | instid1(VALU_DEP_3)
	v_dual_fmac_f32 v33, 0x3f167918, v40 :: v_dual_add_f32 v34, v36, v63
	v_dual_add_f32 v36, v39, v41 :: v_dual_fmamk_f32 v39, v40, 0x3f737871, v4
	v_fmac_f32_e32 v4, 0xbf737871, v40
	v_add_f32_e32 v40, v42, v62
	v_sub_f32_e32 v42, v74, v57
	v_sub_f32_e32 v41, v63, v57
	v_fmac_f32_e32 v39, 0xbf167918, v38
	v_fmac_f32_e32 v4, 0x3f167918, v38
	v_add_f32_e32 v38, v40, v53
	v_add_f32_e32 v40, v60, v56
	v_fmac_f32_e32 v32, 0x3e9e377a, v37
	v_fmac_f32_e32 v11, 0x3e9e377a, v37
	v_dual_add_f32 v37, v34, v57 :: v_dual_sub_f32 v34, v61, v74
	v_fmac_f32_e32 v33, 0x3e9e377a, v36
	v_add_f32_e32 v38, v38, v56
	v_sub_f32_e32 v56, v49, v113
	v_add_f32_e32 v57, v21, v114
	v_add_f32_e32 v41, v34, v41
	v_fma_f32 v34, -0.5, v43, v5
	v_sub_f32_e32 v43, v61, v63
	v_fma_f32 v5, -0.5, v40, v5
	s_delay_alu instid0(VALU_DEP_1) | instskip(SKIP_3) | instid1(VALU_DEP_2)
	v_fmamk_f32 v40, v43, 0xbf737871, v5
	v_fmac_f32_e32 v39, 0x3e9e377a, v41
	v_dual_fmac_f32 v4, 0x3e9e377a, v41 :: v_dual_sub_f32 v41, v62, v60
	v_fmac_f32_e32 v5, 0x3f737871, v43
	v_dual_fmac_f32 v40, 0x3f167918, v42 :: v_dual_add_f32 v45, v41, v45
	v_fmac_f32_e32 v35, 0x3e9e377a, v36
	v_fmamk_f32 v36, v42, 0x3f737871, v34
	v_fmac_f32_e32 v34, 0xbf737871, v42
	v_fma_f32 v41, -0.5, v46, v6
	v_sub_f32_e32 v46, v52, v49
	v_fma_f32 v6, -0.5, v51, v6
	v_fmac_f32_e32 v36, 0x3f167918, v43
	v_dual_fmac_f32 v34, 0xbf167918, v43 :: v_dual_add_f32 v51, v7, v52
	s_delay_alu instid0(VALU_DEP_4) | instskip(SKIP_1) | instid1(VALU_DEP_4)
	v_fmamk_f32 v43, v46, 0xbf737871, v41
	v_fmac_f32_e32 v41, 0x3f737871, v46
	v_fmac_f32_e32 v36, 0x3e9e377a, v44
	ds_store_2addr_b64 v199, v[16:17], v[12:13] offset1:65
	ds_store_2addr_b64 v199, v[14:15], v[8:9] offset0:130 offset1:195
	ds_store_2addr_b64 v127, v[2:3], v[29:30] offset0:4 offset1:69
	;; [unrolled: 1-line block ×4, first 2 shown]
	scratch_load_b32 v11, off, off offset:28 ; 4-byte Folded Reload
	v_fmac_f32_e32 v34, 0x3e9e377a, v44
	v_add_f32_e32 v44, v47, v58
	v_sub_f32_e32 v47, v59, v58
	v_fmac_f32_e32 v5, 0xbf167918, v42
	v_fmac_f32_e32 v43, 0xbf167918, v48
	s_delay_alu instid0(VALU_DEP_4) | instskip(NEXT) | instid1(VALU_DEP_4)
	v_dual_fmac_f32 v41, 0x3f167918, v48 :: v_dual_add_f32 v42, v44, v55
	v_dual_add_f32 v44, v47, v50 :: v_dual_fmamk_f32 v47, v48, 0x3f737871, v6
	v_fmac_f32_e32 v6, 0xbf737871, v48
	v_add_f32_e32 v48, v51, v54
	v_fmac_f32_e32 v40, 0x3e9e377a, v45
	s_delay_alu instid0(VALU_DEP_4) | instskip(NEXT) | instid1(VALU_DEP_4)
	v_dual_sub_f32 v50, v55, v112 :: v_dual_fmac_f32 v47, 0xbf167918, v46
	v_fmac_f32_e32 v6, 0x3f167918, v46
	s_delay_alu instid0(VALU_DEP_4)
	v_add_f32_e32 v46, v48, v113
	v_add_f32_e32 v48, v52, v49
	v_add_nc_u32_e32 v8, 0x1c00, v211
	v_add_nc_u32_e32 v2, 0x1000, v209
	;; [unrolled: 1-line block ×3, first 2 shown]
	v_add_f32_e32 v46, v46, v49
	v_fmac_f32_e32 v5, 0x3e9e377a, v45
	v_sub_f32_e32 v49, v113, v49
	v_sub_f32_e32 v51, v59, v112
	v_add_f32_e32 v45, v42, v112
	v_sub_f32_e32 v42, v58, v59
	v_add_f32_e32 v53, v54, v113
	s_delay_alu instid0(VALU_DEP_2) | instskip(NEXT) | instid1(VALU_DEP_2)
	v_dual_add_f32 v50, v42, v50 :: v_dual_add_nc_u32 v9, 0x2000, v211
	v_fma_f32 v42, -0.5, v53, v7
	v_sub_f32_e32 v53, v58, v55
	s_delay_alu instid0(VALU_DEP_3) | instskip(NEXT) | instid1(VALU_DEP_1)
	v_dual_fmac_f32 v7, -0.5, v48 :: v_dual_fmac_f32 v6, 0x3e9e377a, v50
	v_dual_fmamk_f32 v48, v53, 0xbf737871, v7 :: v_dual_sub_f32 v55, v52, v54
	v_sub_f32_e32 v52, v54, v52
	v_add_f32_e32 v54, v20, v23
	s_delay_alu instid0(VALU_DEP_2) | instskip(NEXT) | instid1(VALU_DEP_4)
	v_add_f32_e32 v52, v52, v49
	v_fmac_f32_e32 v48, 0x3f167918, v51
	v_dual_fmac_f32 v47, 0x3e9e377a, v50 :: v_dual_add_f32 v50, v55, v56
	v_fmac_f32_e32 v43, 0x3e9e377a, v44
	v_fmac_f32_e32 v41, 0x3e9e377a, v44
	v_fmamk_f32 v44, v51, 0x3f737871, v42
	v_fmac_f32_e32 v42, 0xbf737871, v51
	v_fma_f32 v49, -0.5, v54, v0
	v_sub_f32_e32 v54, v18, v24
	v_sub_f32_e32 v56, v19, v22
	v_fmac_f32_e32 v44, 0x3f167918, v53
	v_fmac_f32_e32 v42, 0xbf167918, v53
	;; [unrolled: 1-line block ×3, first 2 shown]
	v_dual_add_f32 v53, v0, v21 :: v_dual_fmac_f32 v48, 0x3e9e377a, v52
	s_delay_alu instid0(VALU_DEP_4) | instskip(NEXT) | instid1(VALU_DEP_4)
	v_fmac_f32_e32 v44, 0x3e9e377a, v50
	v_fmac_f32_e32 v42, 0x3e9e377a, v50
	v_fma_f32 v0, -0.5, v57, v0
	s_delay_alu instid0(VALU_DEP_4) | instskip(SKIP_2) | instid1(VALU_DEP_3)
	v_dual_add_f32 v50, v53, v20 :: v_dual_fmac_f32 v7, 0xbf167918, v51
	v_fmamk_f32 v51, v54, 0xbf737871, v49
	v_sub_f32_e32 v53, v21, v20
	v_dual_fmac_f32 v49, 0x3f737871, v54 :: v_dual_add_f32 v50, v50, v23
	s_delay_alu instid0(VALU_DEP_4) | instskip(NEXT) | instid1(VALU_DEP_4)
	v_fmac_f32_e32 v7, 0x3e9e377a, v52
	v_dual_fmac_f32 v51, 0xbf167918, v56 :: v_dual_sub_f32 v52, v20, v21
	v_dual_sub_f32 v20, v20, v23 :: v_dual_sub_f32 v21, v21, v114
	v_sub_f32_e32 v55, v114, v23
	v_sub_f32_e32 v57, v23, v114
	v_fmac_f32_e32 v49, 0x3f167918, v56
	s_delay_alu instid0(VALU_DEP_2) | instskip(NEXT) | instid1(VALU_DEP_4)
	v_add_f32_e32 v57, v52, v57
	v_add_f32_e32 v55, v53, v55
	;; [unrolled: 1-line block ×3, first 2 shown]
	s_delay_alu instid0(VALU_DEP_2)
	v_dual_add_f32 v50, v19, v22 :: v_dual_fmac_f32 v51, 0x3e9e377a, v55
	v_fmac_f32_e32 v49, 0x3e9e377a, v55
	v_fmamk_f32 v55, v56, 0x3f737871, v0
	v_fmac_f32_e32 v0, 0xbf737871, v56
	v_add_f32_e32 v56, v1, v18
	v_fma_f32 v50, -0.5, v50, v1
	s_delay_alu instid0(VALU_DEP_4) | instskip(NEXT) | instid1(VALU_DEP_4)
	v_fmac_f32_e32 v55, 0xbf167918, v54
	v_fmac_f32_e32 v0, 0x3f167918, v54
	s_delay_alu instid0(VALU_DEP_4) | instskip(SKIP_1) | instid1(VALU_DEP_1)
	v_add_f32_e32 v54, v56, v19
	v_add_f32_e32 v56, v18, v24
	v_dual_fmac_f32 v0, 0x3e9e377a, v57 :: v_dual_fmac_f32 v1, -0.5, v56
	s_delay_alu instid0(VALU_DEP_1)
	v_dual_fmamk_f32 v56, v20, 0xbf737871, v1 :: v_dual_add_f32 v23, v54, v22
	v_sub_f32_e32 v54, v18, v19
	v_dual_sub_f32 v18, v19, v18 :: v_dual_sub_f32 v19, v22, v24
	v_fmamk_f32 v52, v21, 0x3f737871, v50
	v_fmac_f32_e32 v50, 0xbf737871, v21
	v_fmac_f32_e32 v56, 0x3f167918, v21
	s_delay_alu instid0(VALU_DEP_4) | instskip(NEXT) | instid1(VALU_DEP_4)
	v_add_f32_e32 v18, v18, v19
	v_fmac_f32_e32 v52, 0x3f167918, v20
	s_delay_alu instid0(VALU_DEP_4) | instskip(SKIP_3) | instid1(VALU_DEP_2)
	v_fmac_f32_e32 v50, 0xbf167918, v20
	v_fmac_f32_e32 v55, 0x3e9e377a, v57
	v_sub_f32_e32 v57, v24, v22
	v_fmac_f32_e32 v56, 0x3e9e377a, v18
	v_dual_fmac_f32 v1, 0x3f737871, v20 :: v_dual_add_f32 v22, v54, v57
	s_delay_alu instid0(VALU_DEP_1) | instskip(NEXT) | instid1(VALU_DEP_2)
	v_dual_add_f32 v54, v23, v24 :: v_dual_fmac_f32 v1, 0xbf167918, v21
	v_fmac_f32_e32 v52, 0x3e9e377a, v22
	v_fmac_f32_e32 v50, 0x3e9e377a, v22
	s_delay_alu instid0(VALU_DEP_3)
	v_fmac_f32_e32 v1, 0x3e9e377a, v18
	s_waitcnt vmcnt(0)
	v_add_nc_u32_e32 v10, 0x2800, v11
	ds_store_2addr_b64 v2, v[37:38], v[35:36] offset0:138 offset1:203
	ds_store_2addr_b64 v3, v[39:40], v[4:5] offset0:12 offset1:77
	ds_store_2addr_b64 v8, v[45:46], v[43:44] offset0:79 offset1:144
	ds_store_2addr_b64 v9, v[47:48], v[6:7] offset0:81 offset1:146
	ds_store_2addr_b64 v10, v[53:54], v[51:52] offset0:20 offset1:85
	ds_store_2addr_b64 v10, v[55:56], v[0:1] offset0:150 offset1:215
	ds_store_b64 v209, v[33:34] offset:7280
	ds_store_b64 v211, v[41:42] offset:9880
	;; [unrolled: 1-line block ×3, first 2 shown]
	s_waitcnt lgkmcnt(0)
	s_barrier
	buffer_gl0_inv
	ds_load_2addr_b64 v[0:3], v127 offset0:4 offset1:69
	ds_load_2addr_b64 v[12:15], v124 offset0:138 offset1:203
	ds_load_2addr_b64 v[16:19], v128 offset0:142 offset1:207
	ds_load_2addr_b64 v[8:11], v199 offset1:65
	ds_load_2addr_b64 v[20:23], v125 offset0:20 offset1:85
	ds_load_2addr_b64 v[24:27], v127 offset0:134 offset1:199
	;; [unrolled: 1-line block ×8, first 2 shown]
	ds_load_b64 v[48:49], v199 offset:12480
	s_waitcnt lgkmcnt(11)
	v_dual_mul_f32 v50, v97, v3 :: v_dual_mul_f32 v51, v99, v13
	s_waitcnt lgkmcnt(10)
	v_dual_mul_f32 v52, v99, v12 :: v_dual_mul_f32 v53, v105, v19
	s_waitcnt lgkmcnt(8)
	s_delay_alu instid0(VALU_DEP_2)
	v_dual_mul_f32 v61, v111, v23 :: v_dual_fmac_f32 v50, v96, v2
	v_dual_mul_f32 v2, v97, v2 :: v_dual_fmac_f32 v51, v98, v12
	s_waitcnt lgkmcnt(7)
	v_mul_f32_e32 v56, v81, v25
	v_fma_f32 v52, v98, v13, -v52
	v_mul_f32_e32 v13, v107, v21
	v_fma_f32 v55, v96, v3, -v2
	v_mul_f32_e32 v2, v107, v20
	v_fmac_f32_e32 v56, v80, v24
	v_mul_f32_e32 v3, v81, v24
	s_waitcnt lgkmcnt(6)
	v_dual_fmac_f32 v53, v104, v18 :: v_dual_mul_f32 v60, v109, v29
	v_fma_f32 v58, v106, v21, -v2
	v_mul_f32_e32 v2, v83, v14
	v_mul_f32_e32 v57, v83, v15
	v_dual_fmac_f32 v13, v106, v20 :: v_dual_mul_f32 v12, v111, v22
	v_fma_f32 v59, v80, v25, -v3
	s_waitcnt lgkmcnt(3)
	v_dual_mul_f32 v3, v109, v28 :: v_dual_mul_f32 v74, v103, v37
	v_fma_f32 v62, v82, v15, -v2
	v_mul_f32_e32 v2, v93, v26
	v_mul_f32_e32 v54, v105, v18
	v_dual_fmac_f32 v60, v108, v28 :: v_dual_fmac_f32 v57, v82, v14
	v_mul_f32_e32 v70, v95, v33
	v_fma_f32 v63, v108, v29, -v3
	v_fmac_f32_e32 v61, v110, v22
	v_fma_f32 v68, v110, v23, -v12
	s_waitcnt lgkmcnt(2)
	v_mul_f32_e32 v12, v77, v40
	v_dual_mul_f32 v69, v93, v27 :: v_dual_fmac_f32 v70, v94, v32
	v_mul_f32_e32 v3, v95, v32
	v_dual_mul_f32 v71, v101, v31 :: v_dual_fmac_f32 v74, v102, v36
	v_fma_f32 v72, v92, v27, -v2
	v_mul_f32_e32 v2, v101, v30
	v_mul_f32_e32 v75, v77, v41
	v_fma_f32 v54, v104, v19, -v54
	v_dual_fmac_f32 v69, v92, v26 :: v_dual_mul_f32 v82, v91, v39
	v_fma_f32 v73, v94, v33, -v3
	v_dual_fmac_f32 v71, v100, v30 :: v_dual_mul_f32 v20, v87, v17
	s_delay_alu instid0(VALU_DEP_3) | instskip(SKIP_1) | instid1(VALU_DEP_3)
	v_dual_mul_f32 v3, v103, v36 :: v_dual_fmac_f32 v82, v90, v38
	v_fma_f32 v77, v100, v31, -v2
	v_dual_mul_f32 v81, v79, v35 :: v_dual_fmac_f32 v20, v86, v16
	v_dual_mul_f32 v2, v79, v34 :: v_dual_fmac_f32 v75, v76, v40
	v_fma_f32 v76, v76, v41, -v12
	s_waitcnt lgkmcnt(1)
	v_dual_mul_f32 v79, v89, v45 :: v_dual_mul_f32 v12, v87, v16
	v_fma_f32 v80, v102, v37, -v3
	v_mul_f32_e32 v3, v89, v44
	v_dual_mul_f32 v21, v85, v43 :: v_dual_add_f32 v24, v50, v13
	s_delay_alu instid0(VALU_DEP_4)
	v_fma_f32 v19, v86, v17, -v12
	v_add_f32_e32 v12, v8, v50
	v_sub_f32_e32 v17, v52, v54
	v_sub_f32_e32 v15, v55, v58
	v_fmac_f32_e32 v81, v78, v34
	v_fma_f32 v78, v78, v35, -v2
	v_mul_f32_e32 v2, v91, v38
	v_fma_f32 v83, v88, v45, -v3
	v_mul_f32_e32 v3, v85, v42
	v_dual_fmac_f32 v79, v88, v44 :: v_dual_sub_f32 v14, v50, v51
	s_delay_alu instid0(VALU_DEP_4) | instskip(SKIP_4) | instid1(VALU_DEP_4)
	v_fma_f32 v85, v90, v39, -v2
	v_dual_add_f32 v2, v51, v53 :: v_dual_fmac_f32 v21, v84, v42
	v_sub_f32_e32 v16, v13, v53
	v_fma_f32 v18, v84, v43, -v3
	v_mul_f32_e32 v3, v65, v46
	v_fma_f32 v2, -0.5, v2, v8
	v_fma_f32 v8, -0.5, v24, v8
	v_add_f32_e32 v26, v14, v16
	s_waitcnt lgkmcnt(0)
	v_dual_mul_f32 v25, v67, v48 :: v_dual_add_f32 v28, v52, v54
	v_fma_f32 v22, v64, v47, -v3
	v_fmamk_f32 v16, v17, 0x3f737871, v8
	v_add_f32_e32 v27, v9, v55
	s_delay_alu instid0(VALU_DEP_4)
	v_fma_f32 v24, v66, v49, -v25
	v_add_f32_e32 v30, v57, v60
	v_dual_add_f32 v31, v10, v56 :: v_dual_sub_f32 v36, v59, v62
	v_fmac_f32_e32 v16, 0xbf167918, v15
	v_dual_add_f32 v3, v12, v51 :: v_dual_fmamk_f32 v12, v15, 0xbf737871, v2
	v_mul_f32_e32 v23, v65, v47
	v_dual_mul_f32 v65, v67, v49 :: v_dual_fmac_f32 v2, 0x3f737871, v15
	v_fmac_f32_e32 v8, 0xbf737871, v17
	s_delay_alu instid0(VALU_DEP_4) | instskip(SKIP_1) | instid1(VALU_DEP_4)
	v_fmac_f32_e32 v12, 0xbf167918, v17
	v_sub_f32_e32 v25, v53, v13
	v_dual_sub_f32 v29, v58, v54 :: v_dual_fmac_f32 v2, 0x3f167918, v17
	s_delay_alu instid0(VALU_DEP_4) | instskip(NEXT) | instid1(VALU_DEP_4)
	v_dual_add_f32 v3, v3, v53 :: v_dual_fmac_f32 v8, 0x3f167918, v15
	v_dual_fmac_f32 v65, v66, v48 :: v_dual_fmac_f32 v12, 0x3e9e377a, v26
	s_delay_alu instid0(VALU_DEP_3) | instskip(NEXT) | instid1(VALU_DEP_3)
	v_fmac_f32_e32 v2, 0x3e9e377a, v26
	v_dual_fmac_f32 v23, v64, v46 :: v_dual_add_f32 v14, v3, v13
	v_sub_f32_e32 v3, v51, v50
	v_sub_f32_e32 v26, v51, v53
	v_dual_sub_f32 v32, v62, v63 :: v_dual_sub_f32 v33, v61, v60
	v_add_f32_e32 v34, v56, v61
	s_delay_alu instid0(VALU_DEP_4) | instskip(SKIP_2) | instid1(VALU_DEP_3)
	v_add_f32_e32 v25, v3, v25
	v_fma_f32 v3, -0.5, v28, v9
	v_dual_sub_f32 v28, v50, v13 :: v_dual_add_f32 v17, v27, v52
	v_dual_sub_f32 v27, v55, v52 :: v_dual_fmac_f32 v16, 0x3e9e377a, v25
	v_fmac_f32_e32 v8, 0x3e9e377a, v25
	s_delay_alu instid0(VALU_DEP_3) | instskip(NEXT) | instid1(VALU_DEP_4)
	v_fmamk_f32 v13, v28, 0x3f737871, v3
	v_add_f32_e32 v15, v17, v54
	v_add_f32_e32 v17, v55, v58
	;; [unrolled: 1-line block ×3, first 2 shown]
	v_fmac_f32_e32 v3, 0xbf737871, v28
	v_sub_f32_e32 v25, v52, v55
	v_add_f32_e32 v15, v15, v58
	v_fma_f32 v9, -0.5, v17, v9
	v_sub_f32_e32 v29, v54, v58
	v_fmac_f32_e32 v3, 0xbf167918, v26
	v_sub_f32_e32 v37, v68, v63
	v_add_f32_e32 v39, v4, v69
	v_fmamk_f32 v17, v26, 0xbf737871, v9
	v_add_f32_e32 v29, v25, v29
	v_fma_f32 v25, -0.5, v30, v10
	v_dual_sub_f32 v30, v59, v68 :: v_dual_fmac_f32 v13, 0x3f167918, v26
	v_dual_fmac_f32 v9, 0x3f737871, v26 :: v_dual_add_f32 v36, v36, v37
	v_add_f32_e32 v26, v31, v57
	v_sub_f32_e32 v31, v56, v57
	v_fma_f32 v10, -0.5, v34, v10
	s_delay_alu instid0(VALU_DEP_4) | instskip(NEXT) | instid1(VALU_DEP_4)
	v_dual_fmac_f32 v9, 0xbf167918, v28 :: v_dual_add_f32 v38, v70, v71
	v_add_f32_e32 v26, v26, v60
	v_dual_add_f32 v34, v11, v59 :: v_dual_fmac_f32 v17, 0x3f167918, v28
	s_delay_alu instid0(VALU_DEP_4)
	v_dual_add_f32 v28, v31, v33 :: v_dual_fmamk_f32 v31, v32, 0x3f737871, v10
	v_fmac_f32_e32 v10, 0xbf737871, v32
	v_fmac_f32_e32 v9, 0x3e9e377a, v29
	v_sub_f32_e32 v33, v60, v61
	v_add_f32_e32 v35, v62, v63
	v_fmac_f32_e32 v31, 0xbf167918, v30
	v_fmac_f32_e32 v10, 0x3f167918, v30
	;; [unrolled: 1-line block ×3, first 2 shown]
	v_dual_add_f32 v29, v26, v61 :: v_dual_sub_f32 v26, v57, v56
	v_fmac_f32_e32 v13, 0x3e9e377a, v27
	v_fmac_f32_e32 v3, 0x3e9e377a, v27
	v_dual_sub_f32 v37, v63, v68 :: v_dual_add_f32 v42, v69, v74
	s_delay_alu instid0(VALU_DEP_4)
	v_add_f32_e32 v33, v26, v33
	v_fma_f32 v26, -0.5, v35, v11
	v_fmamk_f32 v27, v30, 0xbf737871, v25
	v_sub_f32_e32 v35, v57, v60
	v_fmac_f32_e32 v25, 0x3f737871, v30
	v_fmac_f32_e32 v31, 0x3e9e377a, v33
	;; [unrolled: 1-line block ×4, first 2 shown]
	v_dual_sub_f32 v33, v62, v59 :: v_dual_sub_f32 v40, v73, v77
	v_sub_f32_e32 v45, v80, v77
	v_sub_f32_e32 v41, v74, v71
	s_delay_alu instid0(VALU_DEP_4) | instskip(NEXT) | instid1(VALU_DEP_4)
	v_fmac_f32_e32 v27, 0x3e9e377a, v28
	v_add_f32_e32 v37, v33, v37
	v_fma_f32 v33, -0.5, v38, v4
	v_sub_f32_e32 v38, v72, v80
	v_dual_fmac_f32 v25, 0x3f167918, v32 :: v_dual_add_f32 v32, v34, v62
	v_sub_f32_e32 v34, v56, v61
	v_fma_f32 v4, -0.5, v42, v4
	v_add_f32_e32 v42, v5, v72
	s_delay_alu instid0(VALU_DEP_4) | instskip(NEXT) | instid1(VALU_DEP_4)
	v_dual_fmac_f32 v25, 0x3e9e377a, v28 :: v_dual_add_f32 v30, v32, v63
	v_fmamk_f32 v28, v34, 0x3f737871, v26
	v_add_f32_e32 v32, v59, v68
	v_fmac_f32_e32 v26, 0xbf737871, v34
	v_dual_sub_f32 v44, v72, v73 :: v_dual_add_f32 v47, v6, v75
	s_delay_alu instid0(VALU_DEP_3) | instskip(NEXT) | instid1(VALU_DEP_3)
	v_dual_fmac_f32 v28, 0x3f167918, v35 :: v_dual_fmac_f32 v11, -0.5, v32
	v_fmac_f32_e32 v26, 0xbf167918, v35
	s_delay_alu instid0(VALU_DEP_3) | instskip(SKIP_1) | instid1(VALU_DEP_4)
	v_add_f32_e32 v44, v44, v45
	v_add_f32_e32 v46, v81, v79
	v_fmac_f32_e32 v28, 0x3e9e377a, v36
	v_fmamk_f32 v32, v35, 0xbf737871, v11
	v_fmac_f32_e32 v26, 0x3e9e377a, v36
	v_dual_fmac_f32 v11, 0x3f737871, v35 :: v_dual_add_f32 v36, v39, v70
	v_sub_f32_e32 v39, v69, v70
	s_delay_alu instid0(VALU_DEP_4) | instskip(SKIP_1) | instid1(VALU_DEP_4)
	v_fmac_f32_e32 v32, 0x3f167918, v34
	v_fmamk_f32 v35, v38, 0xbf737871, v33
	v_dual_fmac_f32 v11, 0xbf167918, v34 :: v_dual_add_f32 v34, v36, v71
	s_delay_alu instid0(VALU_DEP_4) | instskip(SKIP_2) | instid1(VALU_DEP_4)
	v_dual_add_f32 v36, v39, v41 :: v_dual_fmamk_f32 v39, v40, 0x3f737871, v4
	v_fmac_f32_e32 v4, 0xbf737871, v40
	v_fmac_f32_e32 v32, 0x3e9e377a, v37
	;; [unrolled: 1-line block ×3, first 2 shown]
	v_sub_f32_e32 v41, v71, v74
	v_dual_fmac_f32 v39, 0xbf167918, v38 :: v_dual_sub_f32 v48, v78, v83
	v_fmac_f32_e32 v4, 0x3f167918, v38
	v_add_f32_e32 v37, v34, v74
	v_dual_sub_f32 v34, v70, v69 :: v_dual_fmac_f32 v33, 0x3f737871, v38
	v_add_f32_e32 v43, v73, v77
	v_sub_f32_e32 v45, v77, v80
	v_sub_f32_e32 v49, v82, v79
	s_delay_alu instid0(VALU_DEP_4) | instskip(NEXT) | instid1(VALU_DEP_4)
	v_dual_add_f32 v41, v34, v41 :: v_dual_add_f32 v50, v75, v82
	v_fma_f32 v34, -0.5, v43, v5
	v_sub_f32_e32 v43, v70, v71
	v_fmac_f32_e32 v35, 0xbf167918, v40
	s_delay_alu instid0(VALU_DEP_4) | instskip(SKIP_3) | instid1(VALU_DEP_3)
	v_fmac_f32_e32 v39, 0x3e9e377a, v41
	v_dual_fmac_f32 v4, 0x3e9e377a, v41 :: v_dual_sub_f32 v41, v73, v72
	v_dual_sub_f32 v52, v76, v78 :: v_dual_sub_f32 v53, v85, v83
	v_dual_add_f32 v54, v20, v23 :: v_dual_sub_f32 v55, v21, v20
	v_add_f32_e32 v45, v41, v45
	v_fma_f32 v41, -0.5, v46, v6
	v_dual_sub_f32 v46, v76, v85 :: v_dual_fmac_f32 v33, 0x3f167918, v40
	v_add_f32_e32 v40, v42, v73
	v_sub_f32_e32 v42, v69, v74
	v_fma_f32 v6, -0.5, v50, v6
	v_add_f32_e32 v50, v7, v76
	v_add_f32_e32 v52, v52, v53
	;; [unrolled: 1-line block ×4, first 2 shown]
	v_sub_f32_e32 v56, v65, v23
	v_dual_add_f32 v57, v21, v65 :: v_dual_add_f32 v30, v30, v68
	s_delay_alu instid0(VALU_DEP_4) | instskip(NEXT) | instid1(VALU_DEP_4)
	v_add_f32_e32 v38, v38, v80
	v_fma_f32 v5, -0.5, v40, v5
	s_delay_alu instid0(VALU_DEP_4) | instskip(NEXT) | instid1(VALU_DEP_2)
	v_dual_add_f32 v55, v55, v56 :: v_dual_sub_f32 v56, v20, v21
	v_fmamk_f32 v40, v43, 0xbf737871, v5
	v_fmac_f32_e32 v5, 0x3f737871, v43
	s_delay_alu instid0(VALU_DEP_2)
	v_fmac_f32_e32 v40, 0x3f167918, v42
	v_fmac_f32_e32 v33, 0x3e9e377a, v36
	;; [unrolled: 1-line block ×3, first 2 shown]
	v_fmamk_f32 v36, v42, 0x3f737871, v34
	v_fmac_f32_e32 v34, 0xbf737871, v42
	v_fmac_f32_e32 v40, 0x3e9e377a, v45
	;; [unrolled: 1-line block ×3, first 2 shown]
	s_delay_alu instid0(VALU_DEP_4) | instskip(NEXT) | instid1(VALU_DEP_4)
	v_fmac_f32_e32 v36, 0x3f167918, v43
	v_fmac_f32_e32 v34, 0xbf167918, v43
	v_fmamk_f32 v43, v46, 0xbf737871, v41
	v_fmac_f32_e32 v41, 0x3f737871, v46
	s_delay_alu instid0(VALU_DEP_4) | instskip(NEXT) | instid1(VALU_DEP_4)
	v_fmac_f32_e32 v36, 0x3e9e377a, v44
	v_fmac_f32_e32 v34, 0x3e9e377a, v44
	v_add_f32_e32 v44, v47, v81
	v_sub_f32_e32 v47, v75, v81
	v_fmac_f32_e32 v43, 0xbf167918, v48
	s_delay_alu instid0(VALU_DEP_3) | instskip(NEXT) | instid1(VALU_DEP_3)
	v_dual_fmac_f32 v41, 0x3f167918, v48 :: v_dual_add_f32 v42, v44, v79
	v_dual_add_f32 v44, v47, v49 :: v_dual_fmamk_f32 v47, v48, 0x3f737871, v6
	v_fmac_f32_e32 v6, 0xbf737871, v48
	v_add_f32_e32 v48, v50, v78
	v_sub_f32_e32 v49, v79, v82
	s_delay_alu instid0(VALU_DEP_4)
	v_fmac_f32_e32 v43, 0x3e9e377a, v44
	v_fmac_f32_e32 v47, 0xbf167918, v46
	;; [unrolled: 1-line block ×3, first 2 shown]
	v_add_f32_e32 v46, v48, v83
	v_dual_sub_f32 v50, v75, v82 :: v_dual_add_f32 v51, v78, v83
	v_add_f32_e32 v48, v76, v85
	s_delay_alu instid0(VALU_DEP_3) | instskip(SKIP_2) | instid1(VALU_DEP_1)
	v_add_f32_e32 v46, v46, v85
	v_fmac_f32_e32 v5, 0x3e9e377a, v45
	v_dual_add_f32 v45, v42, v82 :: v_dual_sub_f32 v42, v81, v75
	v_add_f32_e32 v49, v42, v49
	v_fma_f32 v42, -0.5, v51, v7
	v_sub_f32_e32 v51, v81, v79
	v_fmac_f32_e32 v7, -0.5, v48
	s_delay_alu instid0(VALU_DEP_1) | instskip(SKIP_1) | instid1(VALU_DEP_2)
	v_fmamk_f32 v48, v51, 0xbf737871, v7
	v_fmac_f32_e32 v6, 0x3e9e377a, v49
	v_fmac_f32_e32 v48, 0x3f167918, v50
	;; [unrolled: 1-line block ×3, first 2 shown]
	v_fmamk_f32 v44, v50, 0x3f737871, v42
	v_fmac_f32_e32 v42, 0xbf737871, v50
	s_delay_alu instid0(VALU_DEP_2) | instskip(NEXT) | instid1(VALU_DEP_2)
	v_fmac_f32_e32 v44, 0x3f167918, v51
	v_fmac_f32_e32 v42, 0xbf167918, v51
	;; [unrolled: 1-line block ×3, first 2 shown]
	v_sub_f32_e32 v49, v78, v76
	s_delay_alu instid0(VALU_DEP_4) | instskip(NEXT) | instid1(VALU_DEP_4)
	v_fmac_f32_e32 v44, 0x3e9e377a, v52
	v_fmac_f32_e32 v42, 0x3e9e377a, v52
	v_dual_sub_f32 v52, v19, v22 :: v_dual_fmac_f32 v7, 0x3f737871, v51
	v_add_f32_e32 v51, v0, v21
	s_delay_alu instid0(VALU_DEP_1) | instskip(SKIP_1) | instid1(VALU_DEP_2)
	v_dual_fmac_f32 v7, 0xbf167918, v50 :: v_dual_add_f32 v50, v51, v20
	v_dual_sub_f32 v53, v83, v85 :: v_dual_sub_f32 v20, v20, v23
	v_dual_sub_f32 v21, v21, v65 :: v_dual_add_f32 v50, v50, v23
	s_delay_alu instid0(VALU_DEP_2)
	v_add_f32_e32 v53, v49, v53
	v_fma_f32 v49, -0.5, v54, v0
	v_sub_f32_e32 v54, v18, v24
	v_fma_f32 v0, -0.5, v57, v0
	v_sub_f32_e32 v57, v23, v65
	v_fmac_f32_e32 v48, 0x3e9e377a, v53
	s_delay_alu instid0(VALU_DEP_4) | instskip(NEXT) | instid1(VALU_DEP_3)
	v_fmamk_f32 v51, v54, 0xbf737871, v49
	v_dual_fmac_f32 v49, 0x3f737871, v54 :: v_dual_add_f32 v56, v56, v57
	s_delay_alu instid0(VALU_DEP_2) | instskip(NEXT) | instid1(VALU_DEP_2)
	v_fmac_f32_e32 v51, 0xbf167918, v52
	v_fmac_f32_e32 v49, 0x3f167918, v52
	s_delay_alu instid0(VALU_DEP_2) | instskip(NEXT) | instid1(VALU_DEP_2)
	v_fmac_f32_e32 v51, 0x3e9e377a, v55
	v_fmac_f32_e32 v49, 0x3e9e377a, v55
	v_fmamk_f32 v55, v52, 0x3f737871, v0
	v_fmac_f32_e32 v0, 0xbf737871, v52
	v_add_f32_e32 v52, v1, v18
	s_delay_alu instid0(VALU_DEP_3) | instskip(NEXT) | instid1(VALU_DEP_3)
	v_fmac_f32_e32 v55, 0xbf167918, v54
	v_fmac_f32_e32 v0, 0x3f167918, v54
	;; [unrolled: 1-line block ×3, first 2 shown]
	v_dual_add_f32 v53, v50, v65 :: v_dual_add_f32 v50, v19, v22
	v_add_f32_e32 v54, v52, v19
	s_delay_alu instid0(VALU_DEP_4) | instskip(NEXT) | instid1(VALU_DEP_3)
	v_fmac_f32_e32 v0, 0x3e9e377a, v56
	v_fma_f32 v50, -0.5, v50, v1
	s_delay_alu instid0(VALU_DEP_1) | instskip(SKIP_1) | instid1(VALU_DEP_2)
	v_dual_add_f32 v57, v18, v24 :: v_dual_fmamk_f32 v52, v21, 0x3f737871, v50
	v_fmac_f32_e32 v50, 0xbf737871, v21
	v_fmac_f32_e32 v52, 0x3f167918, v20
	s_delay_alu instid0(VALU_DEP_2) | instskip(NEXT) | instid1(VALU_DEP_4)
	v_dual_fmac_f32 v50, 0xbf167918, v20 :: v_dual_add_f32 v23, v54, v22
	v_dual_fmac_f32 v1, -0.5, v57 :: v_dual_sub_f32 v54, v18, v19
	v_sub_f32_e32 v57, v24, v22
	v_dual_sub_f32 v18, v19, v18 :: v_dual_sub_f32 v19, v22, v24
	s_delay_alu instid0(VALU_DEP_2) | instskip(NEXT) | instid1(VALU_DEP_2)
	v_dual_add_f32 v22, v54, v57 :: v_dual_fmac_f32 v55, 0x3e9e377a, v56
	v_add_f32_e32 v18, v18, v19
	v_add_nc_u32_e32 v19, 0x1000, v203
	s_delay_alu instid0(VALU_DEP_3) | instskip(SKIP_4) | instid1(VALU_DEP_4)
	v_fmac_f32_e32 v50, 0x3e9e377a, v22
	v_fmamk_f32 v56, v20, 0xbf737871, v1
	v_fmac_f32_e32 v1, 0x3f737871, v20
	v_add_nc_u32_e32 v20, 0x1c00, v203
	v_fmac_f32_e32 v52, 0x3e9e377a, v22
	v_fmac_f32_e32 v56, 0x3f167918, v21
	s_delay_alu instid0(VALU_DEP_4) | instskip(SKIP_1) | instid1(VALU_DEP_3)
	v_dual_fmac_f32 v1, 0xbf167918, v21 :: v_dual_add_f32 v54, v23, v24
	v_mad_u64_u32 v[23:24], null, s4, v200, 0
	v_fmac_f32_e32 v56, 0x3e9e377a, v18
	s_delay_alu instid0(VALU_DEP_3)
	v_fmac_f32_e32 v1, 0x3e9e377a, v18
	v_add_nc_u32_e32 v18, 0x800, v203
	v_add_nc_u32_e32 v21, 0x2800, v203
	ds_store_b64 v199, v[14:15]
	ds_store_2addr_b64 v18, v[12:13], v[27:28] offset0:69 offset1:134
	ds_store_2addr_b64 v19, v[16:17], v[31:32] offset0:138 offset1:203
	;; [unrolled: 1-line block ×5, first 2 shown]
	ds_store_b64 v215, v[35:36] offset:2600
	ds_store_b64 v215, v[39:40] offset:5200
	;; [unrolled: 1-line block ×14, first 2 shown]
	s_waitcnt lgkmcnt(0)
	s_barrier
	buffer_gl0_inv
	scratch_load_b64 v[8:9], off, off       ; 8-byte Folded Reload
	ds_load_2addr_b64 v[0:3], v199 offset1:125
	s_waitcnt lgkmcnt(0)
	v_mul_f32_e32 v4, v192, v1
	v_dual_mul_f32 v5, v192, v0 :: v_dual_mul_f32 v6, v190, v3
	s_delay_alu instid0(VALU_DEP_2) | instskip(NEXT) | instid1(VALU_DEP_2)
	v_dual_mul_f32 v7, v190, v2 :: v_dual_fmac_f32 v4, v191, v0
	v_fma_f32 v5, v191, v1, -v5
	s_delay_alu instid0(VALU_DEP_3) | instskip(NEXT) | instid1(VALU_DEP_3)
	v_fmac_f32_e32 v6, v189, v2
	v_fma_f32 v7, v189, v3, -v7
	s_delay_alu instid0(VALU_DEP_4) | instskip(NEXT) | instid1(VALU_DEP_4)
	v_cvt_f64_f32_e32 v[0:1], v4
	v_cvt_f64_f32_e32 v[4:5], v5
	s_delay_alu instid0(VALU_DEP_4) | instskip(NEXT) | instid1(VALU_DEP_4)
	v_cvt_f64_f32_e32 v[2:3], v6
	v_cvt_f64_f32_e32 v[6:7], v7
	s_delay_alu instid0(VALU_DEP_4) | instskip(NEXT) | instid1(VALU_DEP_4)
	v_mul_f64 v[0:1], v[0:1], s[2:3]
	v_mul_f64 v[4:5], v[4:5], s[2:3]
	s_delay_alu instid0(VALU_DEP_4) | instskip(NEXT) | instid1(VALU_DEP_4)
	v_mul_f64 v[15:16], v[2:3], s[2:3]
	v_mul_f64 v[17:18], v[6:7], s[2:3]
	v_add_nc_u32_e32 v6, 0x400, v199
	v_cvt_f32_f64_e32 v0, v[0:1]
	v_cvt_f32_f64_e32 v1, v[4:5]
	;; [unrolled: 1-line block ×4, first 2 shown]
	s_waitcnt vmcnt(0)
	v_mad_u64_u32 v[11:12], null, s6, v8, 0
	s_mul_i32 s6, s4, 0x7d
	s_delay_alu instid0(VALU_DEP_1) | instskip(NEXT) | instid1(VALU_DEP_1)
	v_mov_b32_e32 v2, v12
	v_mad_u64_u32 v[12:13], null, s7, v8, v[2:3]
	ds_load_2addr_b64 v[7:10], v6 offset0:122 offset1:247
	v_mov_b32_e32 v2, v24
	s_delay_alu instid0(VALU_DEP_1) | instskip(SKIP_2) | instid1(VALU_DEP_3)
	v_mad_u64_u32 v[13:14], null, s5, v200, v[2:3]
	v_add_nc_u32_e32 v3, 0xc00, v199
	v_lshlrev_b64 v[19:20], 3, v[11:12]
	v_mov_b32_e32 v24, v13
	ds_load_2addr_b64 v[11:14], v3 offset0:116 offset1:241
	v_add_co_u32 v55, s0, s10, v19
	s_delay_alu instid0(VALU_DEP_1)
	v_add_co_ci_u32_e64 v56, s0, s11, v20, s0
	s_waitcnt lgkmcnt(1)
	v_dual_mul_f32 v2, v175, v8 :: v_dual_mul_f32 v19, v177, v10
	v_add_nc_u32_e32 v4, 0x1400, v199
	v_mul_f32_e32 v5, v175, v7
	v_lshlrev_b64 v[23:24], 3, v[23:24]
	s_delay_alu instid0(VALU_DEP_4)
	v_dual_fmac_f32 v2, v174, v7 :: v_dual_mul_f32 v7, v177, v9
	v_fmac_f32_e32 v19, v176, v9
	ds_load_2addr_b64 v[15:18], v4 offset0:110 offset1:235
	s_mul_i32 s0, s5, 0x7d
	v_cvt_f64_f32_e32 v[27:28], v2
	s_add_i32 s7, s1, s0
	v_cvt_f64_f32_e32 v[31:32], v19
	v_add_co_u32 v23, s0, v55, v23
	s_waitcnt lgkmcnt(1)
	v_mul_f32_e32 v2, v173, v12
	v_fma_f32 v5, v174, v8, -v5
	v_mul_f32_e32 v19, v185, v14
	v_add_co_ci_u32_e64 v24, s0, v56, v24, s0
	s_delay_alu instid0(VALU_DEP_4) | instskip(NEXT) | instid1(VALU_DEP_4)
	v_fmac_f32_e32 v2, v172, v11
	v_cvt_f64_f32_e32 v[29:30], v5
	v_fma_f32 v5, v176, v10, -v7
	v_mul_f32_e32 v7, v173, v11
	v_fmac_f32_e32 v19, v184, v13
	s_lshl_b64 s[6:7], s[6:7], 3
	s_delay_alu instid0(VALU_DEP_3)
	v_cvt_f64_f32_e32 v[33:34], v5
	s_waitcnt lgkmcnt(0)
	v_mul_f32_e32 v42, v179, v17
	v_fma_f32 v20, v172, v12, -v7
	v_cvt_f64_f32_e32 v[11:12], v2
	v_add_nc_u32_e32 v2, 0x2400, v199
	v_cvt_f64_f32_e32 v[37:38], v19
	v_add_nc_u32_e32 v5, 0x1c00, v199
	v_cvt_f64_f32_e32 v[35:36], v20
	v_dual_mul_f32 v40, v181, v15 :: v_dual_mul_f32 v41, v179, v18
	ds_load_2addr_b64 v[19:22], v2 offset0:98 offset1:223
	ds_load_2addr_b64 v[7:10], v5 offset0:104 offset1:229
	v_mul_f32_e32 v39, v181, v16
	v_fma_f32 v40, v180, v16, -v40
	v_fmac_f32_e32 v41, v178, v17
	v_mul_f32_e32 v13, v185, v13
	v_fma_f32 v43, v178, v18, -v42
	v_add_co_u32 v55, s0, v23, s6
	v_cvt_f64_f32_e32 v[17:18], v40
	v_add_co_ci_u32_e64 v56, s0, s7, v24, s0
	s_delay_alu instid0(VALU_DEP_4)
	v_cvt_f64_f32_e32 v[43:44], v43
	v_mul_f64 v[27:28], v[27:28], s[2:3]
	v_mul_f64 v[31:32], v[31:32], s[2:3]
	s_waitcnt lgkmcnt(1)
	v_mul_f32_e32 v52, v183, v21
	s_waitcnt lgkmcnt(0)
	v_mul_f32_e32 v46, v167, v7
	v_fmac_f32_e32 v39, v180, v15
	v_fma_f32 v13, v184, v14, -v13
	v_mul_f32_e32 v49, v169, v20
	v_mul_f32_e32 v45, v167, v8
	;; [unrolled: 1-line block ×3, first 2 shown]
	v_cvt_f64_f32_e32 v[15:16], v39
	v_cvt_f64_f32_e32 v[39:40], v41
	ds_load_b64 v[41:42], v199 offset:12000
	v_cvt_f64_f32_e32 v[13:14], v13
	v_dual_mul_f32 v48, v171, v9 :: v_dual_fmac_f32 v49, v168, v19
	v_mul_f32_e32 v19, v169, v19
	v_mul_f32_e32 v51, v183, v22
	v_fmac_f32_e32 v45, v166, v7
	v_fma_f32 v46, v166, v8, -v46
	v_fmac_f32_e32 v47, v170, v9
	v_fma_f32 v48, v170, v10, -v48
	v_fma_f32 v19, v168, v20, -v19
	v_fmac_f32_e32 v51, v182, v21
	v_fma_f32 v52, v182, v22, -v52
	v_cvt_f64_f32_e32 v[7:8], v45
	v_cvt_f64_f32_e32 v[9:10], v46
	;; [unrolled: 1-line block ×7, first 2 shown]
	s_waitcnt lgkmcnt(0)
	v_mul_f32_e32 v54, v187, v41
	v_mul_f32_e32 v53, v187, v42
	v_mul_f64 v[29:30], v[29:30], s[2:3]
	v_mul_f64 v[33:34], v[33:34], s[2:3]
	;; [unrolled: 1-line block ×3, first 2 shown]
	v_fma_f32 v54, v186, v42, -v54
	v_fmac_f32_e32 v53, v186, v41
	v_cvt_f64_f32_e32 v[41:42], v52
	v_mul_f64 v[35:36], v[35:36], s[2:3]
	v_mul_f64 v[37:38], v[37:38], s[2:3]
	;; [unrolled: 1-line block ×3, first 2 shown]
	v_cvt_f64_f32_e32 v[51:52], v53
	v_cvt_f64_f32_e32 v[53:54], v54
	s_clause 0x1
	global_store_b64 v[23:24], v[0:1], off
	global_store_b64 v[55:56], v[25:26], off
	v_mul_f64 v[23:24], v[43:44], s[2:3]
	v_cvt_f32_f64_e32 v27, v[27:28]
	v_mul_f64 v[15:16], v[15:16], s[2:3]
	v_mul_f64 v[0:1], v[39:40], s[2:3]
	v_cvt_f32_f64_e32 v31, v[31:32]
	v_mul_f64 v[13:14], v[13:14], s[2:3]
	v_mul_f64 v[7:8], v[7:8], s[2:3]
	;; [unrolled: 1-line block ×8, first 2 shown]
	v_cvt_f32_f64_e32 v28, v[29:30]
	v_cvt_f32_f64_e32 v32, v[33:34]
	;; [unrolled: 1-line block ×3, first 2 shown]
	v_add_co_u32 v29, s0, v55, s6
	v_mul_f64 v[41:42], v[41:42], s[2:3]
	v_cvt_f32_f64_e32 v12, v[35:36]
	v_add_co_ci_u32_e64 v30, s0, s7, v56, s0
	v_mul_f64 v[45:46], v[51:52], s[2:3]
	v_mul_f64 v[47:48], v[53:54], s[2:3]
	v_cvt_f32_f64_e32 v37, v[37:38]
	v_add_co_u32 v33, s0, v29, s6
	s_delay_alu instid0(VALU_DEP_1)
	v_add_co_ci_u32_e64 v34, s0, s7, v30, s0
	v_cvt_f32_f64_e32 v0, v[0:1]
	v_cvt_f32_f64_e32 v38, v[13:14]
	;; [unrolled: 1-line block ×4, first 2 shown]
	v_add_co_u32 v35, s0, v33, s6
	s_delay_alu instid0(VALU_DEP_1) | instskip(SKIP_1) | instid1(VALU_DEP_3)
	v_add_co_ci_u32_e64 v36, s0, s7, v34, s0
	v_cvt_f32_f64_e32 v1, v[23:24]
	v_add_co_u32 v15, s0, v35, s6
	s_delay_alu instid0(VALU_DEP_1)
	v_add_co_ci_u32_e64 v16, s0, s7, v36, s0
	v_cvt_f32_f64_e32 v7, v[7:8]
	v_cvt_f32_f64_e32 v8, v[9:10]
	;; [unrolled: 1-line block ×4, first 2 shown]
	v_add_co_u32 v23, s0, v15, s6
	v_cvt_f32_f64_e32 v17, v[43:44]
	v_cvt_f32_f64_e32 v18, v[19:20]
	;; [unrolled: 1-line block ×3, first 2 shown]
	v_add_co_ci_u32_e64 v24, s0, s7, v16, s0
	v_add_co_u32 v25, s0, v23, s6
	global_store_b64 v[29:30], v[27:28], off
	v_cvt_f32_f64_e32 v20, v[41:42]
	v_add_co_ci_u32_e64 v26, s0, s7, v24, s0
	v_add_co_u32 v27, s0, v25, s6
	v_cvt_f32_f64_e32 v21, v[45:46]
	v_cvt_f32_f64_e32 v22, v[47:48]
	s_delay_alu instid0(VALU_DEP_4) | instskip(SKIP_4) | instid1(VALU_DEP_1)
	v_add_co_ci_u32_e64 v28, s0, s7, v26, s0
	s_clause 0x1
	global_store_b64 v[33:34], v[31:32], off
	global_store_b64 v[35:36], v[11:12], off
	v_add_co_u32 v11, s0, v27, s6
	v_add_co_ci_u32_e64 v12, s0, s7, v28, s0
	global_store_b64 v[15:16], v[37:38], off
	v_add_co_u32 v15, s0, v11, s6
	s_delay_alu instid0(VALU_DEP_1) | instskip(SKIP_2) | instid1(VALU_DEP_1)
	v_add_co_ci_u32_e64 v16, s0, s7, v12, s0
	global_store_b64 v[23:24], v[13:14], off
	v_add_co_u32 v13, s0, v15, s6
	v_add_co_ci_u32_e64 v14, s0, s7, v16, s0
	global_store_b64 v[25:26], v[0:1], off
	v_add_co_u32 v0, s0, v13, s6
	s_delay_alu instid0(VALU_DEP_1)
	v_add_co_ci_u32_e64 v1, s0, s7, v14, s0
	global_store_b64 v[27:28], v[7:8], off
	global_store_b64 v[11:12], v[9:10], off
	;; [unrolled: 1-line block ×5, first 2 shown]
	s_and_b32 exec_lo, exec_lo, vcc_lo
	s_cbranch_execz .LBB0_15
; %bb.14:
	global_load_b64 v[7:8], v[164:165], off offset:520
	ds_load_b64 v[9:10], v203 offset:520
	s_mul_i32 s0, s5, 0xffffd328
	s_delay_alu instid0(SALU_CYCLE_1) | instskip(SKIP_3) | instid1(VALU_DEP_2)
	s_sub_i32 s0, s0, s4
	s_waitcnt vmcnt(0) lgkmcnt(0)
	v_mul_f32_e32 v11, v10, v8
	v_mul_f32_e32 v8, v9, v8
	v_fmac_f32_e32 v11, v9, v7
	s_delay_alu instid0(VALU_DEP_2) | instskip(NEXT) | instid1(VALU_DEP_2)
	v_fma_f32 v9, v7, v10, -v8
	v_cvt_f64_f32_e32 v[7:8], v11
	s_delay_alu instid0(VALU_DEP_2) | instskip(NEXT) | instid1(VALU_DEP_2)
	v_cvt_f64_f32_e32 v[9:10], v9
	v_mul_f64 v[7:8], v[7:8], s[2:3]
	s_delay_alu instid0(VALU_DEP_2) | instskip(NEXT) | instid1(VALU_DEP_2)
	v_mul_f64 v[9:10], v[9:10], s[2:3]
	v_cvt_f32_f64_e32 v7, v[7:8]
	s_delay_alu instid0(VALU_DEP_2) | instskip(SKIP_1) | instid1(VALU_DEP_1)
	v_cvt_f32_f64_e32 v8, v[9:10]
	v_mad_u64_u32 v[10:11], null, 0xffffd328, s4, v[0:1]
	v_add_nc_u32_e32 v11, s0, v11
	global_store_b64 v[10:11], v[7:8], off
	global_load_b64 v[0:1], v[164:165], off offset:1520
	ds_load_2addr_b64 v[6:9], v6 offset0:62 offset1:187
	s_waitcnt vmcnt(0) lgkmcnt(0)
	v_mul_f32_e32 v12, v7, v1
	v_mul_f32_e32 v1, v6, v1
	s_delay_alu instid0(VALU_DEP_2) | instskip(NEXT) | instid1(VALU_DEP_2)
	v_fmac_f32_e32 v12, v6, v0
	v_fma_f32 v6, v0, v7, -v1
	s_delay_alu instid0(VALU_DEP_2) | instskip(NEXT) | instid1(VALU_DEP_2)
	v_cvt_f64_f32_e32 v[0:1], v12
	v_cvt_f64_f32_e32 v[6:7], v6
	s_delay_alu instid0(VALU_DEP_2) | instskip(NEXT) | instid1(VALU_DEP_2)
	v_mul_f64 v[0:1], v[0:1], s[2:3]
	v_mul_f64 v[6:7], v[6:7], s[2:3]
	s_delay_alu instid0(VALU_DEP_2) | instskip(NEXT) | instid1(VALU_DEP_2)
	v_cvt_f32_f64_e32 v0, v[0:1]
	v_cvt_f32_f64_e32 v1, v[6:7]
	v_add_co_u32 v6, vcc_lo, v10, s6
	v_add_co_ci_u32_e32 v7, vcc_lo, s7, v11, vcc_lo
	global_store_b64 v[6:7], v[0:1], off
	global_load_b64 v[0:1], v[164:165], off offset:2520
	s_waitcnt vmcnt(0)
	v_mul_f32_e32 v10, v9, v1
	v_mul_f32_e32 v1, v8, v1
	s_delay_alu instid0(VALU_DEP_2) | instskip(NEXT) | instid1(VALU_DEP_2)
	v_fmac_f32_e32 v10, v8, v0
	v_fma_f32 v8, v0, v9, -v1
	s_delay_alu instid0(VALU_DEP_2) | instskip(NEXT) | instid1(VALU_DEP_2)
	v_cvt_f64_f32_e32 v[0:1], v10
	v_cvt_f64_f32_e32 v[8:9], v8
	v_add_co_u32 v10, vcc_lo, v6, s6
	v_add_co_ci_u32_e32 v11, vcc_lo, s7, v7, vcc_lo
	s_delay_alu instid0(VALU_DEP_4) | instskip(NEXT) | instid1(VALU_DEP_4)
	v_mul_f64 v[0:1], v[0:1], s[2:3]
	v_mul_f64 v[8:9], v[8:9], s[2:3]
	s_delay_alu instid0(VALU_DEP_2) | instskip(NEXT) | instid1(VALU_DEP_2)
	v_cvt_f32_f64_e32 v0, v[0:1]
	v_cvt_f32_f64_e32 v1, v[8:9]
	ds_load_2addr_b64 v[6:9], v3 offset0:56 offset1:181
	global_store_b64 v[10:11], v[0:1], off
	global_load_b64 v[0:1], v[164:165], off offset:3520
	s_waitcnt vmcnt(0) lgkmcnt(0)
	v_mul_f32_e32 v3, v7, v1
	v_mul_f32_e32 v1, v6, v1
	s_delay_alu instid0(VALU_DEP_2) | instskip(NEXT) | instid1(VALU_DEP_2)
	v_fmac_f32_e32 v3, v6, v0
	v_fma_f32 v6, v0, v7, -v1
	s_delay_alu instid0(VALU_DEP_2) | instskip(NEXT) | instid1(VALU_DEP_2)
	v_cvt_f64_f32_e32 v[0:1], v3
	v_cvt_f64_f32_e32 v[6:7], v6
	s_delay_alu instid0(VALU_DEP_2) | instskip(NEXT) | instid1(VALU_DEP_2)
	v_mul_f64 v[0:1], v[0:1], s[2:3]
	v_mul_f64 v[6:7], v[6:7], s[2:3]
	s_delay_alu instid0(VALU_DEP_2) | instskip(NEXT) | instid1(VALU_DEP_2)
	v_cvt_f32_f64_e32 v0, v[0:1]
	v_cvt_f32_f64_e32 v1, v[6:7]
	v_add_co_u32 v6, vcc_lo, v10, s6
	v_add_co_ci_u32_e32 v7, vcc_lo, s7, v11, vcc_lo
	s_delay_alu instid0(VALU_DEP_2) | instskip(NEXT) | instid1(VALU_DEP_2)
	v_add_co_u32 v10, vcc_lo, v6, s6
	v_add_co_ci_u32_e32 v11, vcc_lo, s7, v7, vcc_lo
	global_store_b64 v[6:7], v[0:1], off
	global_load_b64 v[0:1], v[162:163], off offset:424
	s_waitcnt vmcnt(0)
	v_mul_f32_e32 v3, v9, v1
	v_mul_f32_e32 v1, v8, v1
	s_delay_alu instid0(VALU_DEP_2) | instskip(NEXT) | instid1(VALU_DEP_2)
	v_fmac_f32_e32 v3, v8, v0
	v_fma_f32 v8, v0, v9, -v1
	s_delay_alu instid0(VALU_DEP_2) | instskip(NEXT) | instid1(VALU_DEP_2)
	v_cvt_f64_f32_e32 v[0:1], v3
	v_cvt_f64_f32_e32 v[8:9], v8
	s_delay_alu instid0(VALU_DEP_2) | instskip(NEXT) | instid1(VALU_DEP_2)
	v_mul_f64 v[0:1], v[0:1], s[2:3]
	v_mul_f64 v[8:9], v[8:9], s[2:3]
	s_delay_alu instid0(VALU_DEP_2) | instskip(NEXT) | instid1(VALU_DEP_2)
	v_cvt_f32_f64_e32 v0, v[0:1]
	v_cvt_f32_f64_e32 v1, v[8:9]
	ds_load_2addr_b64 v[6:9], v4 offset0:50 offset1:175
	global_store_b64 v[10:11], v[0:1], off
	global_load_b64 v[0:1], v[162:163], off offset:1424
	s_waitcnt vmcnt(0) lgkmcnt(0)
	v_mul_f32_e32 v3, v7, v1
	v_mul_f32_e32 v1, v6, v1
	s_delay_alu instid0(VALU_DEP_2) | instskip(NEXT) | instid1(VALU_DEP_2)
	v_fmac_f32_e32 v3, v6, v0
	v_fma_f32 v4, v0, v7, -v1
	s_delay_alu instid0(VALU_DEP_2) | instskip(NEXT) | instid1(VALU_DEP_2)
	v_cvt_f64_f32_e32 v[0:1], v3
	v_cvt_f64_f32_e32 v[3:4], v4
	s_delay_alu instid0(VALU_DEP_2) | instskip(NEXT) | instid1(VALU_DEP_2)
	v_mul_f64 v[0:1], v[0:1], s[2:3]
	v_mul_f64 v[3:4], v[3:4], s[2:3]
	s_delay_alu instid0(VALU_DEP_2) | instskip(NEXT) | instid1(VALU_DEP_2)
	v_cvt_f32_f64_e32 v0, v[0:1]
	v_cvt_f32_f64_e32 v1, v[3:4]
	v_add_co_u32 v3, vcc_lo, v10, s6
	v_add_co_ci_u32_e32 v4, vcc_lo, s7, v11, vcc_lo
	global_store_b64 v[3:4], v[0:1], off
	global_load_b64 v[0:1], v[162:163], off offset:2424
	s_waitcnt vmcnt(0)
	v_mul_f32_e32 v6, v9, v1
	v_mul_f32_e32 v1, v8, v1
	s_delay_alu instid0(VALU_DEP_2) | instskip(NEXT) | instid1(VALU_DEP_2)
	v_fmac_f32_e32 v6, v8, v0
	v_fma_f32 v7, v0, v9, -v1
	s_delay_alu instid0(VALU_DEP_2) | instskip(NEXT) | instid1(VALU_DEP_2)
	v_cvt_f64_f32_e32 v[0:1], v6
	v_cvt_f64_f32_e32 v[6:7], v7
	s_delay_alu instid0(VALU_DEP_2) | instskip(NEXT) | instid1(VALU_DEP_2)
	v_mul_f64 v[0:1], v[0:1], s[2:3]
	v_mul_f64 v[6:7], v[6:7], s[2:3]
	s_delay_alu instid0(VALU_DEP_2) | instskip(NEXT) | instid1(VALU_DEP_2)
	v_cvt_f32_f64_e32 v0, v[0:1]
	v_cvt_f32_f64_e32 v1, v[6:7]
	v_add_co_u32 v7, vcc_lo, v3, s6
	v_add_co_ci_u32_e32 v8, vcc_lo, s7, v4, vcc_lo
	ds_load_2addr_b64 v[3:6], v5 offset0:44 offset1:169
	global_store_b64 v[7:8], v[0:1], off
	global_load_b64 v[0:1], v[162:163], off offset:3424
	s_waitcnt vmcnt(0) lgkmcnt(0)
	v_mul_f32_e32 v9, v4, v1
	v_mul_f32_e32 v1, v3, v1
	s_delay_alu instid0(VALU_DEP_2) | instskip(NEXT) | instid1(VALU_DEP_2)
	v_fmac_f32_e32 v9, v3, v0
	v_fma_f32 v3, v0, v4, -v1
	s_delay_alu instid0(VALU_DEP_2) | instskip(NEXT) | instid1(VALU_DEP_2)
	v_cvt_f64_f32_e32 v[0:1], v9
	v_cvt_f64_f32_e32 v[3:4], v3
	s_delay_alu instid0(VALU_DEP_2) | instskip(NEXT) | instid1(VALU_DEP_2)
	v_mul_f64 v[0:1], v[0:1], s[2:3]
	v_mul_f64 v[3:4], v[3:4], s[2:3]
	s_delay_alu instid0(VALU_DEP_2) | instskip(NEXT) | instid1(VALU_DEP_2)
	v_cvt_f32_f64_e32 v0, v[0:1]
	v_cvt_f32_f64_e32 v1, v[3:4]
	v_add_co_u32 v3, vcc_lo, v7, s6
	v_add_co_ci_u32_e32 v4, vcc_lo, s7, v8, vcc_lo
	global_store_b64 v[3:4], v[0:1], off
	global_load_b64 v[0:1], v[160:161], off offset:328
	s_waitcnt vmcnt(0)
	v_mul_f32_e32 v7, v6, v1
	v_mul_f32_e32 v1, v5, v1
	s_delay_alu instid0(VALU_DEP_2) | instskip(NEXT) | instid1(VALU_DEP_2)
	v_fmac_f32_e32 v7, v5, v0
	v_fma_f32 v5, v0, v6, -v1
	s_delay_alu instid0(VALU_DEP_2) | instskip(NEXT) | instid1(VALU_DEP_2)
	v_cvt_f64_f32_e32 v[0:1], v7
	v_cvt_f64_f32_e32 v[5:6], v5
	s_delay_alu instid0(VALU_DEP_2) | instskip(NEXT) | instid1(VALU_DEP_2)
	v_mul_f64 v[0:1], v[0:1], s[2:3]
	v_mul_f64 v[5:6], v[5:6], s[2:3]
	s_delay_alu instid0(VALU_DEP_2) | instskip(NEXT) | instid1(VALU_DEP_2)
	v_cvt_f32_f64_e32 v0, v[0:1]
	v_cvt_f32_f64_e32 v1, v[5:6]
	v_add_co_u32 v5, vcc_lo, v3, s6
	v_add_co_ci_u32_e32 v6, vcc_lo, s7, v4, vcc_lo
	global_store_b64 v[5:6], v[0:1], off
	global_load_b64 v[7:8], v[160:161], off offset:1328
	ds_load_2addr_b64 v[0:3], v2 offset0:38 offset1:163
	s_waitcnt vmcnt(0) lgkmcnt(0)
	v_mul_f32_e32 v4, v1, v8
	v_mul_f32_e32 v8, v0, v8
	s_delay_alu instid0(VALU_DEP_2) | instskip(NEXT) | instid1(VALU_DEP_2)
	v_fmac_f32_e32 v4, v0, v7
	v_fma_f32 v7, v7, v1, -v8
	s_delay_alu instid0(VALU_DEP_2) | instskip(NEXT) | instid1(VALU_DEP_2)
	v_cvt_f64_f32_e32 v[0:1], v4
	v_cvt_f64_f32_e32 v[7:8], v7
	v_add_co_u32 v4, vcc_lo, v5, s6
	v_add_co_ci_u32_e32 v5, vcc_lo, s7, v6, vcc_lo
	s_delay_alu instid0(VALU_DEP_4) | instskip(NEXT) | instid1(VALU_DEP_4)
	v_mul_f64 v[0:1], v[0:1], s[2:3]
	v_mul_f64 v[7:8], v[7:8], s[2:3]
	s_delay_alu instid0(VALU_DEP_2) | instskip(NEXT) | instid1(VALU_DEP_2)
	v_cvt_f32_f64_e32 v0, v[0:1]
	v_cvt_f32_f64_e32 v1, v[7:8]
	global_store_b64 v[4:5], v[0:1], off
	global_load_b64 v[0:1], v[160:161], off offset:2328
	v_add_co_u32 v4, vcc_lo, v4, s6
	v_add_co_ci_u32_e32 v5, vcc_lo, s7, v5, vcc_lo
	s_waitcnt vmcnt(0)
	v_mul_f32_e32 v6, v3, v1
	v_mul_f32_e32 v1, v2, v1
	s_delay_alu instid0(VALU_DEP_2) | instskip(NEXT) | instid1(VALU_DEP_2)
	v_fmac_f32_e32 v6, v2, v0
	v_fma_f32 v2, v0, v3, -v1
	s_delay_alu instid0(VALU_DEP_2) | instskip(NEXT) | instid1(VALU_DEP_2)
	v_cvt_f64_f32_e32 v[0:1], v6
	v_cvt_f64_f32_e32 v[2:3], v2
	s_delay_alu instid0(VALU_DEP_2) | instskip(NEXT) | instid1(VALU_DEP_2)
	v_mul_f64 v[0:1], v[0:1], s[2:3]
	v_mul_f64 v[2:3], v[2:3], s[2:3]
	s_delay_alu instid0(VALU_DEP_2) | instskip(NEXT) | instid1(VALU_DEP_2)
	v_cvt_f32_f64_e32 v0, v[0:1]
	v_cvt_f32_f64_e32 v1, v[2:3]
	global_store_b64 v[4:5], v[0:1], off
	global_load_b64 v[6:7], v[160:161], off offset:3328
	v_add_nc_u32_e32 v0, 0x2c00, v199
	v_add_co_u32 v4, vcc_lo, v4, s6
	v_add_co_ci_u32_e32 v5, vcc_lo, s7, v5, vcc_lo
	ds_load_2addr_b64 v[0:3], v0 offset0:32 offset1:157
	s_waitcnt vmcnt(0) lgkmcnt(0)
	v_mul_f32_e32 v8, v1, v7
	v_mul_f32_e32 v7, v0, v7
	s_delay_alu instid0(VALU_DEP_2) | instskip(NEXT) | instid1(VALU_DEP_2)
	v_fmac_f32_e32 v8, v0, v6
	v_fma_f32 v6, v6, v1, -v7
	s_delay_alu instid0(VALU_DEP_2) | instskip(NEXT) | instid1(VALU_DEP_2)
	v_cvt_f64_f32_e32 v[0:1], v8
	v_cvt_f64_f32_e32 v[6:7], v6
	s_delay_alu instid0(VALU_DEP_2) | instskip(NEXT) | instid1(VALU_DEP_2)
	v_mul_f64 v[0:1], v[0:1], s[2:3]
	v_mul_f64 v[6:7], v[6:7], s[2:3]
	s_delay_alu instid0(VALU_DEP_2) | instskip(NEXT) | instid1(VALU_DEP_2)
	v_cvt_f32_f64_e32 v0, v[0:1]
	v_cvt_f32_f64_e32 v1, v[6:7]
	global_store_b64 v[4:5], v[0:1], off
	global_load_b64 v[0:1], v[193:194], off offset:232
	s_waitcnt vmcnt(0)
	v_mul_f32_e32 v6, v3, v1
	v_mul_f32_e32 v1, v2, v1
	s_delay_alu instid0(VALU_DEP_2) | instskip(NEXT) | instid1(VALU_DEP_2)
	v_fmac_f32_e32 v6, v2, v0
	v_fma_f32 v2, v0, v3, -v1
	s_delay_alu instid0(VALU_DEP_2) | instskip(NEXT) | instid1(VALU_DEP_2)
	v_cvt_f64_f32_e32 v[0:1], v6
	v_cvt_f64_f32_e32 v[2:3], v2
	s_delay_alu instid0(VALU_DEP_2) | instskip(NEXT) | instid1(VALU_DEP_2)
	v_mul_f64 v[0:1], v[0:1], s[2:3]
	v_mul_f64 v[2:3], v[2:3], s[2:3]
	s_delay_alu instid0(VALU_DEP_2) | instskip(NEXT) | instid1(VALU_DEP_2)
	v_cvt_f32_f64_e32 v0, v[0:1]
	v_cvt_f32_f64_e32 v1, v[2:3]
	v_add_co_u32 v2, vcc_lo, v4, s6
	v_add_co_ci_u32_e32 v3, vcc_lo, s7, v5, vcc_lo
	global_store_b64 v[2:3], v[0:1], off
.LBB0_15:
	s_nop 0
	s_sendmsg sendmsg(MSG_DEALLOC_VGPRS)
	s_endpgm
	.section	.rodata,"a",@progbits
	.p2align	6, 0x0
	.amdhsa_kernel bluestein_single_back_len1625_dim1_sp_op_CI_CI
		.amdhsa_group_segment_fixed_size 26000
		.amdhsa_private_segment_fixed_size 56
		.amdhsa_kernarg_size 104
		.amdhsa_user_sgpr_count 15
		.amdhsa_user_sgpr_dispatch_ptr 0
		.amdhsa_user_sgpr_queue_ptr 0
		.amdhsa_user_sgpr_kernarg_segment_ptr 1
		.amdhsa_user_sgpr_dispatch_id 0
		.amdhsa_user_sgpr_private_segment_size 0
		.amdhsa_wavefront_size32 1
		.amdhsa_uses_dynamic_stack 0
		.amdhsa_enable_private_segment 1
		.amdhsa_system_sgpr_workgroup_id_x 1
		.amdhsa_system_sgpr_workgroup_id_y 0
		.amdhsa_system_sgpr_workgroup_id_z 0
		.amdhsa_system_sgpr_workgroup_info 0
		.amdhsa_system_vgpr_workitem_id 0
		.amdhsa_next_free_vgpr 256
		.amdhsa_next_free_sgpr 20
		.amdhsa_reserve_vcc 1
		.amdhsa_float_round_mode_32 0
		.amdhsa_float_round_mode_16_64 0
		.amdhsa_float_denorm_mode_32 3
		.amdhsa_float_denorm_mode_16_64 3
		.amdhsa_dx10_clamp 1
		.amdhsa_ieee_mode 1
		.amdhsa_fp16_overflow 0
		.amdhsa_workgroup_processor_mode 1
		.amdhsa_memory_ordered 1
		.amdhsa_forward_progress 0
		.amdhsa_shared_vgpr_count 0
		.amdhsa_exception_fp_ieee_invalid_op 0
		.amdhsa_exception_fp_denorm_src 0
		.amdhsa_exception_fp_ieee_div_zero 0
		.amdhsa_exception_fp_ieee_overflow 0
		.amdhsa_exception_fp_ieee_underflow 0
		.amdhsa_exception_fp_ieee_inexact 0
		.amdhsa_exception_int_div_zero 0
	.end_amdhsa_kernel
	.text
.Lfunc_end0:
	.size	bluestein_single_back_len1625_dim1_sp_op_CI_CI, .Lfunc_end0-bluestein_single_back_len1625_dim1_sp_op_CI_CI
                                        ; -- End function
	.section	.AMDGPU.csdata,"",@progbits
; Kernel info:
; codeLenInByte = 34860
; NumSgprs: 22
; NumVgprs: 256
; ScratchSize: 56
; MemoryBound: 0
; FloatMode: 240
; IeeeMode: 1
; LDSByteSize: 26000 bytes/workgroup (compile time only)
; SGPRBlocks: 2
; VGPRBlocks: 31
; NumSGPRsForWavesPerEU: 22
; NumVGPRsForWavesPerEU: 256
; Occupancy: 5
; WaveLimiterHint : 1
; COMPUTE_PGM_RSRC2:SCRATCH_EN: 1
; COMPUTE_PGM_RSRC2:USER_SGPR: 15
; COMPUTE_PGM_RSRC2:TRAP_HANDLER: 0
; COMPUTE_PGM_RSRC2:TGID_X_EN: 1
; COMPUTE_PGM_RSRC2:TGID_Y_EN: 0
; COMPUTE_PGM_RSRC2:TGID_Z_EN: 0
; COMPUTE_PGM_RSRC2:TIDIG_COMP_CNT: 0
	.text
	.p2alignl 7, 3214868480
	.fill 96, 4, 3214868480
	.type	__hip_cuid_e45fd38c81272b81,@object ; @__hip_cuid_e45fd38c81272b81
	.section	.bss,"aw",@nobits
	.globl	__hip_cuid_e45fd38c81272b81
__hip_cuid_e45fd38c81272b81:
	.byte	0                               ; 0x0
	.size	__hip_cuid_e45fd38c81272b81, 1

	.ident	"AMD clang version 19.0.0git (https://github.com/RadeonOpenCompute/llvm-project roc-6.4.0 25133 c7fe45cf4b819c5991fe208aaa96edf142730f1d)"
	.section	".note.GNU-stack","",@progbits
	.addrsig
	.addrsig_sym __hip_cuid_e45fd38c81272b81
	.amdgpu_metadata
---
amdhsa.kernels:
  - .args:
      - .actual_access:  read_only
        .address_space:  global
        .offset:         0
        .size:           8
        .value_kind:     global_buffer
      - .actual_access:  read_only
        .address_space:  global
        .offset:         8
        .size:           8
        .value_kind:     global_buffer
      - .actual_access:  read_only
        .address_space:  global
        .offset:         16
        .size:           8
        .value_kind:     global_buffer
      - .actual_access:  read_only
        .address_space:  global
        .offset:         24
        .size:           8
        .value_kind:     global_buffer
      - .actual_access:  read_only
        .address_space:  global
        .offset:         32
        .size:           8
        .value_kind:     global_buffer
      - .offset:         40
        .size:           8
        .value_kind:     by_value
      - .address_space:  global
        .offset:         48
        .size:           8
        .value_kind:     global_buffer
      - .address_space:  global
        .offset:         56
        .size:           8
        .value_kind:     global_buffer
      - .address_space:  global
        .offset:         64
        .size:           8
        .value_kind:     global_buffer
      - .address_space:  global
        .offset:         72
        .size:           8
        .value_kind:     global_buffer
      - .offset:         80
        .size:           4
        .value_kind:     by_value
      - .address_space:  global
        .offset:         88
        .size:           8
        .value_kind:     global_buffer
      - .address_space:  global
        .offset:         96
        .size:           8
        .value_kind:     global_buffer
    .group_segment_fixed_size: 26000
    .kernarg_segment_align: 8
    .kernarg_segment_size: 104
    .language:       OpenCL C
    .language_version:
      - 2
      - 0
    .max_flat_workgroup_size: 130
    .name:           bluestein_single_back_len1625_dim1_sp_op_CI_CI
    .private_segment_fixed_size: 56
    .sgpr_count:     22
    .sgpr_spill_count: 0
    .symbol:         bluestein_single_back_len1625_dim1_sp_op_CI_CI.kd
    .uniform_work_group_size: 1
    .uses_dynamic_stack: false
    .vgpr_count:     256
    .vgpr_spill_count: 13
    .wavefront_size: 32
    .workgroup_processor_mode: 1
amdhsa.target:   amdgcn-amd-amdhsa--gfx1100
amdhsa.version:
  - 1
  - 2
...

	.end_amdgpu_metadata
